;; amdgpu-corpus repo=ROCm/rocFFT kind=compiled arch=gfx906 opt=O3
	.text
	.amdgcn_target "amdgcn-amd-amdhsa--gfx906"
	.amdhsa_code_object_version 6
	.protected	fft_rtc_back_len2000_factors_5_5_5_16_wgs_125_tpt_125_halfLds_sp_op_CI_CI_sbrr_dirReg ; -- Begin function fft_rtc_back_len2000_factors_5_5_5_16_wgs_125_tpt_125_halfLds_sp_op_CI_CI_sbrr_dirReg
	.globl	fft_rtc_back_len2000_factors_5_5_5_16_wgs_125_tpt_125_halfLds_sp_op_CI_CI_sbrr_dirReg
	.p2align	8
	.type	fft_rtc_back_len2000_factors_5_5_5_16_wgs_125_tpt_125_halfLds_sp_op_CI_CI_sbrr_dirReg,@function
fft_rtc_back_len2000_factors_5_5_5_16_wgs_125_tpt_125_halfLds_sp_op_CI_CI_sbrr_dirReg: ; @fft_rtc_back_len2000_factors_5_5_5_16_wgs_125_tpt_125_halfLds_sp_op_CI_CI_sbrr_dirReg
; %bb.0:
	s_load_dwordx4 s[16:19], s[4:5], 0x18
	s_load_dwordx4 s[12:15], s[4:5], 0x0
	;; [unrolled: 1-line block ×3, first 2 shown]
	v_mul_u32_u24_e32 v1, 0x20d, v0
	v_mov_b32_e32 v5, 0
	s_waitcnt lgkmcnt(0)
	s_load_dwordx2 s[20:21], s[16:17], 0x0
	s_load_dwordx2 s[2:3], s[18:19], 0x0
	v_cmp_lt_u64_e64 s[0:1], s[14:15], 2
	v_mov_b32_e32 v45, 0
	v_add_u32_sdwa v7, s6, v1 dst_sel:DWORD dst_unused:UNUSED_PAD src0_sel:DWORD src1_sel:WORD_1
	v_mov_b32_e32 v8, v5
	s_and_b64 vcc, exec, s[0:1]
	v_mov_b32_e32 v46, 0
	s_cbranch_vccnz .LBB0_8
; %bb.1:
	s_load_dwordx2 s[0:1], s[4:5], 0x10
	s_add_u32 s6, s18, 8
	s_addc_u32 s7, s19, 0
	s_add_u32 s22, s16, 8
	s_addc_u32 s23, s17, 0
	v_mov_b32_e32 v45, 0
	s_waitcnt lgkmcnt(0)
	s_add_u32 s24, s0, 8
	v_mov_b32_e32 v46, 0
	v_mov_b32_e32 v1, v45
	s_addc_u32 s25, s1, 0
	s_mov_b64 s[26:27], 1
	v_mov_b32_e32 v2, v46
.LBB0_2:                                ; =>This Inner Loop Header: Depth=1
	s_load_dwordx2 s[28:29], s[24:25], 0x0
                                        ; implicit-def: $vgpr3_vgpr4
	s_waitcnt lgkmcnt(0)
	v_or_b32_e32 v6, s29, v8
	v_cmp_ne_u64_e32 vcc, 0, v[5:6]
	s_and_saveexec_b64 s[0:1], vcc
	s_xor_b64 s[30:31], exec, s[0:1]
	s_cbranch_execz .LBB0_4
; %bb.3:                                ;   in Loop: Header=BB0_2 Depth=1
	v_cvt_f32_u32_e32 v3, s28
	v_cvt_f32_u32_e32 v4, s29
	s_sub_u32 s0, 0, s28
	s_subb_u32 s1, 0, s29
	v_mac_f32_e32 v3, 0x4f800000, v4
	v_rcp_f32_e32 v3, v3
	v_mul_f32_e32 v3, 0x5f7ffffc, v3
	v_mul_f32_e32 v4, 0x2f800000, v3
	v_trunc_f32_e32 v4, v4
	v_mac_f32_e32 v3, 0xcf800000, v4
	v_cvt_u32_f32_e32 v4, v4
	v_cvt_u32_f32_e32 v3, v3
	v_mul_lo_u32 v6, s0, v4
	v_mul_hi_u32 v9, s0, v3
	v_mul_lo_u32 v11, s1, v3
	v_mul_lo_u32 v10, s0, v3
	v_add_u32_e32 v6, v9, v6
	v_add_u32_e32 v6, v6, v11
	v_mul_hi_u32 v9, v3, v10
	v_mul_lo_u32 v11, v3, v6
	v_mul_hi_u32 v13, v3, v6
	v_mul_hi_u32 v12, v4, v10
	v_mul_lo_u32 v10, v4, v10
	v_mul_hi_u32 v14, v4, v6
	v_add_co_u32_e32 v9, vcc, v9, v11
	v_addc_co_u32_e32 v11, vcc, 0, v13, vcc
	v_mul_lo_u32 v6, v4, v6
	v_add_co_u32_e32 v9, vcc, v9, v10
	v_addc_co_u32_e32 v9, vcc, v11, v12, vcc
	v_addc_co_u32_e32 v10, vcc, 0, v14, vcc
	v_add_co_u32_e32 v6, vcc, v9, v6
	v_addc_co_u32_e32 v9, vcc, 0, v10, vcc
	v_add_co_u32_e32 v3, vcc, v3, v6
	v_addc_co_u32_e32 v4, vcc, v4, v9, vcc
	v_mul_lo_u32 v6, s0, v4
	v_mul_hi_u32 v9, s0, v3
	v_mul_lo_u32 v10, s1, v3
	v_mul_lo_u32 v11, s0, v3
	v_add_u32_e32 v6, v9, v6
	v_add_u32_e32 v6, v6, v10
	v_mul_lo_u32 v12, v3, v6
	v_mul_hi_u32 v13, v3, v11
	v_mul_hi_u32 v14, v3, v6
	;; [unrolled: 1-line block ×3, first 2 shown]
	v_mul_lo_u32 v11, v4, v11
	v_mul_hi_u32 v9, v4, v6
	v_add_co_u32_e32 v12, vcc, v13, v12
	v_addc_co_u32_e32 v13, vcc, 0, v14, vcc
	v_mul_lo_u32 v6, v4, v6
	v_add_co_u32_e32 v11, vcc, v12, v11
	v_addc_co_u32_e32 v10, vcc, v13, v10, vcc
	v_addc_co_u32_e32 v9, vcc, 0, v9, vcc
	v_add_co_u32_e32 v6, vcc, v10, v6
	v_addc_co_u32_e32 v9, vcc, 0, v9, vcc
	v_add_co_u32_e32 v6, vcc, v3, v6
	v_addc_co_u32_e32 v9, vcc, v4, v9, vcc
	v_mad_u64_u32 v[3:4], s[0:1], v7, v9, 0
	v_mul_hi_u32 v10, v7, v6
	v_add_co_u32_e32 v11, vcc, v10, v3
	v_addc_co_u32_e32 v12, vcc, 0, v4, vcc
	v_mad_u64_u32 v[3:4], s[0:1], v8, v6, 0
	v_mad_u64_u32 v[9:10], s[0:1], v8, v9, 0
	v_add_co_u32_e32 v3, vcc, v11, v3
	v_addc_co_u32_e32 v3, vcc, v12, v4, vcc
	v_addc_co_u32_e32 v4, vcc, 0, v10, vcc
	v_add_co_u32_e32 v6, vcc, v3, v9
	v_addc_co_u32_e32 v9, vcc, 0, v4, vcc
	v_mul_lo_u32 v10, s29, v6
	v_mul_lo_u32 v11, s28, v9
	v_mad_u64_u32 v[3:4], s[0:1], s28, v6, 0
	v_add3_u32 v4, v4, v11, v10
	v_sub_u32_e32 v10, v8, v4
	v_mov_b32_e32 v11, s29
	v_sub_co_u32_e32 v3, vcc, v7, v3
	v_subb_co_u32_e64 v10, s[0:1], v10, v11, vcc
	v_subrev_co_u32_e64 v11, s[0:1], s28, v3
	v_subbrev_co_u32_e64 v10, s[0:1], 0, v10, s[0:1]
	v_cmp_le_u32_e64 s[0:1], s29, v10
	v_cndmask_b32_e64 v12, 0, -1, s[0:1]
	v_cmp_le_u32_e64 s[0:1], s28, v11
	v_cndmask_b32_e64 v11, 0, -1, s[0:1]
	v_cmp_eq_u32_e64 s[0:1], s29, v10
	v_cndmask_b32_e64 v10, v12, v11, s[0:1]
	v_add_co_u32_e64 v11, s[0:1], 2, v6
	v_addc_co_u32_e64 v12, s[0:1], 0, v9, s[0:1]
	v_add_co_u32_e64 v13, s[0:1], 1, v6
	v_addc_co_u32_e64 v14, s[0:1], 0, v9, s[0:1]
	v_subb_co_u32_e32 v4, vcc, v8, v4, vcc
	v_cmp_ne_u32_e64 s[0:1], 0, v10
	v_cmp_le_u32_e32 vcc, s29, v4
	v_cndmask_b32_e64 v10, v14, v12, s[0:1]
	v_cndmask_b32_e64 v12, 0, -1, vcc
	v_cmp_le_u32_e32 vcc, s28, v3
	v_cndmask_b32_e64 v3, 0, -1, vcc
	v_cmp_eq_u32_e32 vcc, s29, v4
	v_cndmask_b32_e32 v3, v12, v3, vcc
	v_cmp_ne_u32_e32 vcc, 0, v3
	v_cndmask_b32_e64 v3, v13, v11, s[0:1]
	v_cndmask_b32_e32 v4, v9, v10, vcc
	v_cndmask_b32_e32 v3, v6, v3, vcc
.LBB0_4:                                ;   in Loop: Header=BB0_2 Depth=1
	s_andn2_saveexec_b64 s[0:1], s[30:31]
	s_cbranch_execz .LBB0_6
; %bb.5:                                ;   in Loop: Header=BB0_2 Depth=1
	v_cvt_f32_u32_e32 v3, s28
	s_sub_i32 s30, 0, s28
	v_rcp_iflag_f32_e32 v3, v3
	v_mul_f32_e32 v3, 0x4f7ffffe, v3
	v_cvt_u32_f32_e32 v3, v3
	v_mul_lo_u32 v4, s30, v3
	v_mul_hi_u32 v4, v3, v4
	v_add_u32_e32 v3, v3, v4
	v_mul_hi_u32 v3, v7, v3
	v_mul_lo_u32 v4, v3, s28
	v_add_u32_e32 v6, 1, v3
	v_sub_u32_e32 v4, v7, v4
	v_subrev_u32_e32 v9, s28, v4
	v_cmp_le_u32_e32 vcc, s28, v4
	v_cndmask_b32_e32 v4, v4, v9, vcc
	v_cndmask_b32_e32 v3, v3, v6, vcc
	v_add_u32_e32 v6, 1, v3
	v_cmp_le_u32_e32 vcc, s28, v4
	v_cndmask_b32_e32 v3, v3, v6, vcc
	v_mov_b32_e32 v4, v5
.LBB0_6:                                ;   in Loop: Header=BB0_2 Depth=1
	s_or_b64 exec, exec, s[0:1]
	v_mul_lo_u32 v6, v4, s28
	v_mul_lo_u32 v11, v3, s29
	v_mad_u64_u32 v[9:10], s[0:1], v3, s28, 0
	s_load_dwordx2 s[0:1], s[22:23], 0x0
	s_load_dwordx2 s[28:29], s[6:7], 0x0
	v_add3_u32 v6, v10, v11, v6
	v_sub_co_u32_e32 v7, vcc, v7, v9
	v_subb_co_u32_e32 v6, vcc, v8, v6, vcc
	s_waitcnt lgkmcnt(0)
	v_mul_lo_u32 v8, s0, v6
	v_mul_lo_u32 v9, s1, v7
	v_mad_u64_u32 v[45:46], s[0:1], s0, v7, v[45:46]
	v_mul_lo_u32 v6, s28, v6
	v_mul_lo_u32 v10, s29, v7
	v_mad_u64_u32 v[1:2], s[0:1], s28, v7, v[1:2]
	s_add_u32 s26, s26, 1
	s_addc_u32 s27, s27, 0
	s_add_u32 s6, s6, 8
	v_add3_u32 v2, v10, v2, v6
	s_addc_u32 s7, s7, 0
	v_mov_b32_e32 v6, s14
	s_add_u32 s22, s22, 8
	v_mov_b32_e32 v7, s15
	s_addc_u32 s23, s23, 0
	v_cmp_ge_u64_e32 vcc, s[26:27], v[6:7]
	s_add_u32 s24, s24, 8
	v_add3_u32 v46, v9, v46, v8
	s_addc_u32 s25, s25, 0
	s_cbranch_vccnz .LBB0_9
; %bb.7:                                ;   in Loop: Header=BB0_2 Depth=1
	v_mov_b32_e32 v8, v4
	v_mov_b32_e32 v7, v3
	s_branch .LBB0_2
.LBB0_8:
	v_mov_b32_e32 v1, v45
	v_mov_b32_e32 v3, v7
	;; [unrolled: 1-line block ×4, first 2 shown]
.LBB0_9:
	s_load_dwordx2 s[0:1], s[4:5], 0x28
	s_lshl_b64 s[14:15], s[14:15], 3
	s_add_u32 s4, s18, s14
	s_addc_u32 s5, s19, s15
                                        ; implicit-def: $sgpr18
                                        ; implicit-def: $vgpr58
                                        ; implicit-def: $vgpr59
                                        ; implicit-def: $vgpr60
	s_waitcnt lgkmcnt(0)
	v_cmp_gt_u64_e32 vcc, s[0:1], v[3:4]
	v_cmp_le_u64_e64 s[0:1], s[0:1], v[3:4]
	s_and_saveexec_b64 s[6:7], s[0:1]
	s_xor_b64 s[0:1], exec, s[6:7]
; %bb.10:
	s_mov_b32 s6, 0x20c49bb
	v_mul_hi_u32 v5, v0, s6
	s_mov_b32 s18, 0
                                        ; implicit-def: $vgpr45_vgpr46
	v_mul_u32_u24_e32 v5, 0x7d, v5
	v_sub_u32_e32 v58, v0, v5
	v_add_u32_e32 v59, 0x7d, v58
	v_add_u32_e32 v60, 0xfa, v58
                                        ; implicit-def: $vgpr0
; %bb.11:
	s_or_saveexec_b64 s[6:7], s[0:1]
	s_load_dwordx2 s[4:5], s[4:5], 0x0
	v_mov_b32_e32 v57, s18
                                        ; implicit-def: $vgpr8
                                        ; implicit-def: $vgpr30
                                        ; implicit-def: $vgpr32
                                        ; implicit-def: $vgpr34
                                        ; implicit-def: $vgpr36
                                        ; implicit-def: $vgpr10
                                        ; implicit-def: $vgpr22
                                        ; implicit-def: $vgpr24
                                        ; implicit-def: $vgpr26
                                        ; implicit-def: $vgpr28
                                        ; implicit-def: $vgpr12
                                        ; implicit-def: $vgpr14
                                        ; implicit-def: $vgpr16
                                        ; implicit-def: $vgpr18
                                        ; implicit-def: $vgpr20
                                        ; implicit-def: $vgpr44
                                        ; implicit-def: $vgpr42
                                        ; implicit-def: $vgpr40
                                        ; implicit-def: $vgpr38
                                        ; implicit-def: $vgpr6
	s_xor_b64 exec, exec, s[6:7]
	s_cbranch_execz .LBB0_15
; %bb.12:
	s_add_u32 s0, s16, s14
	s_mov_b32 s14, 0x20c49bb
	v_mul_hi_u32 v5, v0, s14
	s_addc_u32 s1, s17, s15
	s_load_dwordx2 s[0:1], s[0:1], 0x0
                                        ; implicit-def: $vgpr43
	v_mul_u32_u24_e32 v5, 0x7d, v5
	v_sub_u32_e32 v58, v0, v5
	v_mad_u64_u32 v[5:6], s[14:15], s20, v58, 0
	s_waitcnt lgkmcnt(0)
	v_mul_lo_u32 v11, s1, v3
	v_mul_lo_u32 v12, s0, v4
	v_mad_u64_u32 v[7:8], s[0:1], s0, v3, 0
	v_mov_b32_e32 v0, v6
	v_mad_u64_u32 v[9:10], s[0:1], s21, v58, v[0:1]
	v_add3_u32 v8, v8, v12, v11
	v_lshlrev_b64 v[7:8], 3, v[7:8]
	v_mov_b32_e32 v0, s9
	v_add_co_u32_e64 v11, s[0:1], s8, v7
	v_add_u32_e32 v13, 0x190, v58
	v_mov_b32_e32 v6, v9
	v_addc_co_u32_e64 v12, s[0:1], v0, v8, s[0:1]
	v_mad_u64_u32 v[9:10], s[0:1], s20, v13, 0
	v_lshlrev_b64 v[7:8], 3, v[45:46]
	v_lshlrev_b64 v[5:6], 3, v[5:6]
	v_add_co_u32_e64 v0, s[0:1], v11, v7
	v_mov_b32_e32 v7, v10
	v_addc_co_u32_e64 v44, s[0:1], v12, v8, s[0:1]
	v_mad_u64_u32 v[7:8], s[0:1], s21, v13, v[7:8]
	v_add_u32_e32 v13, 0x320, v58
	v_mad_u64_u32 v[11:12], s[0:1], s20, v13, 0
	v_mov_b32_e32 v10, v7
	v_add_co_u32_e64 v5, s[0:1], v0, v5
	v_lshlrev_b64 v[7:8], 3, v[9:10]
	v_mov_b32_e32 v9, v12
	v_addc_co_u32_e64 v6, s[0:1], v44, v6, s[0:1]
	v_mad_u64_u32 v[9:10], s[0:1], s21, v13, v[9:10]
	v_add_u32_e32 v10, 0x4b0, v58
	v_mad_u64_u32 v[13:14], s[0:1], s20, v10, 0
	v_add_co_u32_e64 v37, s[0:1], v0, v7
	v_mov_b32_e32 v12, v9
	v_mov_b32_e32 v9, v14
	v_addc_co_u32_e64 v38, s[0:1], v44, v8, s[0:1]
	v_lshlrev_b64 v[7:8], 3, v[11:12]
	v_mad_u64_u32 v[9:10], s[0:1], s21, v10, v[9:10]
	v_add_u32_e32 v12, 0x640, v58
	v_mad_u64_u32 v[10:11], s[0:1], s20, v12, 0
	v_add_co_u32_e64 v39, s[0:1], v0, v7
	v_mov_b32_e32 v14, v9
	v_mov_b32_e32 v9, v11
	v_addc_co_u32_e64 v40, s[0:1], v44, v8, s[0:1]
	v_mad_u64_u32 v[11:12], s[0:1], s21, v12, v[9:10]
	v_add_u32_e32 v59, 0x7d, v58
	v_lshlrev_b64 v[7:8], 3, v[13:14]
	v_mad_u64_u32 v[12:13], s[0:1], s20, v59, 0
	v_add_co_u32_e64 v41, s[0:1], v0, v7
	v_mov_b32_e32 v9, v13
	v_addc_co_u32_e64 v42, s[0:1], v44, v8, s[0:1]
	v_lshlrev_b64 v[7:8], 3, v[10:11]
	v_mad_u64_u32 v[9:10], s[0:1], s21, v59, v[9:10]
	v_add_u32_e32 v14, 0x20d, v58
	v_mad_u64_u32 v[10:11], s[0:1], s20, v14, 0
	v_add_co_u32_e64 v45, s[0:1], v0, v7
	v_mov_b32_e32 v13, v9
	v_mov_b32_e32 v9, v11
	v_addc_co_u32_e64 v46, s[0:1], v44, v8, s[0:1]
	v_lshlrev_b64 v[7:8], 3, v[12:13]
	v_mad_u64_u32 v[11:12], s[0:1], s21, v14, v[9:10]
	v_add_u32_e32 v14, 0x39d, v58
	v_mad_u64_u32 v[12:13], s[0:1], s20, v14, 0
	v_add_co_u32_e64 v47, s[0:1], v0, v7
	v_mov_b32_e32 v9, v13
	v_addc_co_u32_e64 v48, s[0:1], v44, v8, s[0:1]
	v_lshlrev_b64 v[7:8], 3, v[10:11]
	v_mad_u64_u32 v[9:10], s[0:1], s21, v14, v[9:10]
	v_add_u32_e32 v14, 0x52d, v58
	v_mad_u64_u32 v[10:11], s[0:1], s20, v14, 0
	v_add_co_u32_e64 v49, s[0:1], v0, v7
	v_mov_b32_e32 v13, v9
	v_mov_b32_e32 v9, v11
	v_addc_co_u32_e64 v50, s[0:1], v44, v8, s[0:1]
	v_lshlrev_b64 v[7:8], 3, v[12:13]
	v_mad_u64_u32 v[11:12], s[0:1], s21, v14, v[9:10]
	v_add_u32_e32 v14, 0x6bd, v58
	;; [unrolled: 15-line block ×4, first 2 shown]
	v_mad_u64_u32 v[12:13], s[0:1], s20, v14, 0
	v_add_co_u32_e64 v63, s[0:1], v0, v7
	v_mov_b32_e32 v9, v13
	v_addc_co_u32_e64 v64, s[0:1], v44, v8, s[0:1]
	v_lshlrev_b64 v[7:8], 3, v[10:11]
	v_mad_u64_u32 v[9:10], s[0:1], s21, v14, v[9:10]
	v_add_u32_e32 v14, 0x73a, v58
	v_mad_u64_u32 v[10:11], s[0:1], s20, v14, 0
	v_add_co_u32_e64 v65, s[0:1], v0, v7
	v_mov_b32_e32 v13, v9
	v_mov_b32_e32 v9, v11
	v_addc_co_u32_e64 v66, s[0:1], v44, v8, s[0:1]
	v_lshlrev_b64 v[7:8], 3, v[12:13]
	v_mad_u64_u32 v[11:12], s[0:1], s21, v14, v[9:10]
	v_add_co_u32_e64 v67, s[0:1], v0, v7
	v_addc_co_u32_e64 v68, s[0:1], v44, v8, s[0:1]
	v_lshlrev_b64 v[7:8], 3, v[10:11]
	v_add_co_u32_e64 v69, s[0:1], v0, v7
	v_addc_co_u32_e64 v70, s[0:1], v44, v8, s[0:1]
	global_load_dwordx2 v[7:8], v[5:6], off
	global_load_dwordx2 v[29:30], v[37:38], off
	;; [unrolled: 1-line block ×15, first 2 shown]
	v_cmp_gt_u32_e64 s[0:1], 25, v58
                                        ; implicit-def: $vgpr5
                                        ; implicit-def: $vgpr37
                                        ; implicit-def: $vgpr39
                                        ; implicit-def: $vgpr41
	s_and_saveexec_b64 s[8:9], s[0:1]
	s_cbranch_execz .LBB0_14
; %bb.13:
	v_add_u32_e32 v39, 0x177, v58
	v_mad_u64_u32 v[5:6], s[0:1], s20, v39, 0
	v_add_u32_e32 v41, 0x307, v58
	v_mad_u64_u32 v[37:38], s[0:1], s20, v41, 0
	s_waitcnt vmcnt(14)
	v_mad_u64_u32 v[39:40], s[0:1], s21, v39, v[6:7]
	v_mov_b32_e32 v6, v39
	v_mad_u64_u32 v[38:39], s[0:1], s21, v41, v[38:39]
	v_add_u32_e32 v41, 0x497, v58
	v_mad_u64_u32 v[39:40], s[0:1], s20, v41, 0
	v_lshlrev_b64 v[5:6], 3, v[5:6]
	v_add_co_u32_e64 v45, s[0:1], v0, v5
	v_addc_co_u32_e64 v46, s[0:1], v44, v6, s[0:1]
	v_lshlrev_b64 v[5:6], 3, v[37:38]
	v_mov_b32_e32 v37, v40
	v_mad_u64_u32 v[37:38], s[0:1], s21, v41, v[37:38]
	v_add_u32_e32 v38, 0x627, v58
	v_mad_u64_u32 v[41:42], s[0:1], s20, v38, 0
	v_add_co_u32_e64 v47, s[0:1], v0, v5
	v_mov_b32_e32 v40, v37
	v_mov_b32_e32 v37, v42
	v_addc_co_u32_e64 v48, s[0:1], v44, v6, s[0:1]
	v_mad_u64_u32 v[37:38], s[0:1], s21, v38, v[37:38]
	v_lshlrev_b64 v[5:6], 3, v[39:40]
	v_add_co_u32_e64 v49, s[0:1], v0, v5
	v_mov_b32_e32 v42, v37
	v_add_u32_e32 v37, 0x7b7, v58
	v_addc_co_u32_e64 v50, s[0:1], v44, v6, s[0:1]
	v_mad_u64_u32 v[51:52], s[0:1], s20, v37, 0
	v_lshlrev_b64 v[5:6], 3, v[41:42]
	v_add_co_u32_e64 v53, s[0:1], v0, v5
	v_mov_b32_e32 v5, v52
	v_addc_co_u32_e64 v54, s[0:1], v44, v6, s[0:1]
	v_mad_u64_u32 v[55:56], s[0:1], s21, v37, v[5:6]
	global_load_dwordx2 v[5:6], v[45:46], off
	global_load_dwordx2 v[37:38], v[47:48], off
	;; [unrolled: 1-line block ×4, first 2 shown]
	v_mov_b32_e32 v52, v55
	v_lshlrev_b64 v[45:46], 3, v[51:52]
	v_add_co_u32_e64 v43, s[0:1], v0, v45
	v_addc_co_u32_e64 v44, s[0:1], v44, v46, s[0:1]
	global_load_dwordx2 v[43:44], v[43:44], off
.LBB0_14:
	s_or_b64 exec, exec, s[8:9]
	v_mov_b32_e32 v57, v58
.LBB0_15:
	s_or_b64 exec, exec, s[6:7]
	s_waitcnt vmcnt(11)
	v_add_f32_e32 v45, v31, v33
	v_fma_f32 v45, -0.5, v45, v7
	s_waitcnt vmcnt(10)
	v_sub_f32_e32 v46, v30, v36
	v_mov_b32_e32 v47, v45
	v_fmac_f32_e32 v47, 0xbf737871, v46
	v_sub_f32_e32 v48, v32, v34
	v_sub_f32_e32 v49, v29, v31
	;; [unrolled: 1-line block ×3, first 2 shown]
	v_fmac_f32_e32 v45, 0x3f737871, v46
	v_fmac_f32_e32 v47, 0xbf167918, v48
	v_add_f32_e32 v49, v49, v50
	v_fmac_f32_e32 v45, 0x3f167918, v48
	v_fmac_f32_e32 v47, 0x3e9e377a, v49
	;; [unrolled: 1-line block ×3, first 2 shown]
	v_add_f32_e32 v49, v29, v35
	v_add_f32_e32 v0, v7, v29
	v_fmac_f32_e32 v7, -0.5, v49
	v_mov_b32_e32 v49, v7
	v_fmac_f32_e32 v49, 0x3f737871, v48
	v_sub_f32_e32 v50, v31, v29
	v_sub_f32_e32 v51, v33, v35
	v_fmac_f32_e32 v7, 0xbf737871, v48
	s_waitcnt vmcnt(6)
	v_add_f32_e32 v48, v23, v25
	v_fmac_f32_e32 v49, 0xbf167918, v46
	v_add_f32_e32 v50, v50, v51
	v_fmac_f32_e32 v7, 0x3f167918, v46
	v_fma_f32 v48, -0.5, v48, v9
	v_fmac_f32_e32 v49, 0x3e9e377a, v50
	v_fmac_f32_e32 v7, 0x3e9e377a, v50
	s_waitcnt vmcnt(5)
	v_sub_f32_e32 v50, v22, v28
	v_mov_b32_e32 v51, v48
	v_sub_f32_e32 v52, v21, v23
	v_sub_f32_e32 v53, v27, v25
	v_fmac_f32_e32 v51, 0xbf737871, v50
	v_add_f32_e32 v52, v52, v53
	v_sub_f32_e32 v53, v24, v26
	v_fmac_f32_e32 v48, 0x3f737871, v50
	v_fmac_f32_e32 v51, 0xbf167918, v53
	;; [unrolled: 1-line block ×5, first 2 shown]
	v_add_f32_e32 v52, v21, v27
	v_add_f32_e32 v46, v9, v21
	v_fmac_f32_e32 v9, -0.5, v52
	v_sub_f32_e32 v52, v23, v21
	v_sub_f32_e32 v54, v25, v27
	v_add_f32_e32 v52, v52, v54
	v_mov_b32_e32 v54, v9
	v_add_f32_e32 v0, v0, v31
	v_fmac_f32_e32 v54, 0x3f737871, v53
	v_fmac_f32_e32 v9, 0xbf737871, v53
	v_add_f32_e32 v0, v0, v33
	v_fmac_f32_e32 v54, 0xbf167918, v50
	v_fmac_f32_e32 v9, 0x3f167918, v50
	s_waitcnt vmcnt(1)
	v_add_f32_e32 v50, v15, v17
	v_add_f32_e32 v0, v0, v35
	v_mad_u32_u24 v68, v58, 20, 0
	v_fma_f32 v50, -0.5, v50, v11
	ds_write2_b32 v68, v0, v47 offset1:1
	v_sub_f32_e32 v0, v13, v15
	s_waitcnt vmcnt(0)
	v_sub_f32_e32 v47, v19, v17
	v_fmac_f32_e32 v54, 0x3e9e377a, v52
	v_fmac_f32_e32 v9, 0x3e9e377a, v52
	v_add_f32_e32 v0, v0, v47
	v_sub_f32_e32 v47, v14, v20
	v_mov_b32_e32 v52, v50
	v_fmac_f32_e32 v52, 0xbf737871, v47
	v_sub_f32_e32 v53, v16, v18
	v_fmac_f32_e32 v50, 0x3f737871, v47
	v_fmac_f32_e32 v52, 0xbf167918, v53
	;; [unrolled: 1-line block ×3, first 2 shown]
	ds_write2_b32 v68, v49, v7 offset0:2 offset1:3
	v_add_f32_e32 v7, v46, v23
	v_fmac_f32_e32 v52, 0x3e9e377a, v0
	v_fmac_f32_e32 v50, 0x3e9e377a, v0
	v_add_f32_e32 v0, v11, v13
	v_add_f32_e32 v7, v7, v25
	;; [unrolled: 1-line block ×3, first 2 shown]
	v_mad_i32_i24 v69, v59, 20, 0
	v_add_f32_e32 v0, v0, v15
	ds_write_b32 v68, v45 offset:16
	ds_write2_b32 v69, v7, v51 offset1:1
	v_add_f32_e32 v7, v41, v39
	v_add_f32_e32 v0, v0, v17
	v_fma_f32 v65, -0.5, v7, v5
	v_add_f32_e32 v0, v0, v19
	v_mad_i32_i24 v70, v60, 20, 0
	v_sub_f32_e32 v7, v38, v44
	ds_write2_b32 v69, v54, v9 offset0:2 offset1:3
	v_mov_b32_e32 v67, v65
	ds_write_b32 v69, v48 offset:16
	ds_write2_b32 v70, v0, v52 offset1:1
	v_sub_f32_e32 v0, v37, v39
	v_sub_f32_e32 v9, v43, v41
	v_fmac_f32_e32 v67, 0xbf737871, v7
	v_add_f32_e32 v0, v9, v0
	v_sub_f32_e32 v9, v40, v42
	v_fmac_f32_e32 v65, 0x3f737871, v7
	v_add_f32_e32 v55, v13, v19
	v_fmac_f32_e32 v67, 0xbf167918, v9
	v_fmac_f32_e32 v65, 0x3f167918, v9
	v_add_f32_e32 v45, v43, v37
	v_fmac_f32_e32 v11, -0.5, v55
	v_sub_f32_e32 v55, v15, v13
	v_sub_f32_e32 v56, v17, v19
	v_fmac_f32_e32 v67, 0x3e9e377a, v0
	v_fmac_f32_e32 v65, 0x3e9e377a, v0
	v_add_f32_e32 v0, v37, v5
	v_fmac_f32_e32 v5, -0.5, v45
	v_add_f32_e32 v55, v55, v56
	v_mov_b32_e32 v56, v11
	v_mov_b32_e32 v66, v5
	v_fmac_f32_e32 v56, 0x3f737871, v53
	v_fmac_f32_e32 v11, 0xbf737871, v53
	v_sub_f32_e32 v45, v39, v37
	v_sub_f32_e32 v46, v41, v43
	v_fmac_f32_e32 v66, 0x3f737871, v9
	v_fmac_f32_e32 v5, 0xbf737871, v9
	v_add_f32_e32 v0, v39, v0
	v_fmac_f32_e32 v56, 0xbf167918, v47
	v_fmac_f32_e32 v11, 0x3f167918, v47
	v_add_f32_e32 v45, v46, v45
	;; [unrolled: 3-line block ×4, first 2 shown]
	v_fmac_f32_e32 v66, 0x3e9e377a, v45
	v_fmac_f32_e32 v5, 0x3e9e377a, v45
	v_cmp_gt_u32_e64 s[0:1], 25, v58
	ds_write2_b32 v70, v56, v11 offset0:2 offset1:3
	ds_write_b32 v70, v50 offset:16
	s_and_saveexec_b64 s[6:7], s[0:1]
	s_cbranch_execz .LBB0_17
; %bb.16:
	v_add_u32_e32 v0, 0x1d4c, v68
	ds_write2_b32 v0, v61, v67 offset1:1
	v_add_u32_e32 v0, 0x1d54, v68
	ds_write2_b32 v0, v66, v5 offset1:1
	ds_write_b32 v68, v65 offset:7516
.LBB0_17:
	s_or_b64 exec, exec, s[6:7]
	v_lshlrev_b32_e32 v0, 4, v58
	v_sub_u32_e32 v0, v68, v0
	v_add_u32_e32 v7, 0x600, v0
	s_waitcnt lgkmcnt(0)
	s_barrier
	ds_read2_b32 v[55:56], v7 offset0:16 offset1:141
	v_add_u32_e32 v7, 0xa00, v0
	v_add_u32_e32 v11, 0xe00, v0
	ds_read2_b32 v[49:50], v7 offset0:10 offset1:160
	v_add_u32_e32 v7, 0x1200, v0
	ds_read2_b32 v[51:52], v11 offset0:29 offset1:154
	;; [unrolled: 2-line block ×4, first 2 shown]
	v_lshlrev_b32_e32 v11, 4, v60
	ds_read2_b32 v[45:46], v7 offset0:42 offset1:192
	v_lshlrev_b32_e32 v7, 4, v59
	v_sub_u32_e32 v62, v70, v11
	v_sub_u32_e32 v9, v69, v7
	ds_read_b32 v64, v0
	ds_read_b32 v63, v9
	;; [unrolled: 1-line block ×3, first 2 shown]
	s_and_saveexec_b64 s[6:7], s[0:1]
	s_cbranch_execz .LBB0_19
; %bb.18:
	ds_read_b32 v61, v0 offset:1500
	ds_read_b32 v67, v0 offset:3100
	;; [unrolled: 1-line block ×5, first 2 shown]
.LBB0_19:
	s_or_b64 exec, exec, s[6:7]
	v_sub_u32_e32 v71, 0, v11
	v_add_f32_e32 v11, v32, v34
	v_fma_f32 v11, -0.5, v11, v8
	v_sub_f32_e32 v29, v29, v35
	v_mov_b32_e32 v35, v11
	v_fmac_f32_e32 v35, 0x3f737871, v29
	v_sub_f32_e32 v31, v31, v33
	v_sub_f32_e32 v33, v30, v32
	;; [unrolled: 1-line block ×3, first 2 shown]
	v_fmac_f32_e32 v11, 0xbf737871, v29
	v_fmac_f32_e32 v35, 0x3f167918, v31
	v_add_f32_e32 v33, v33, v72
	v_fmac_f32_e32 v11, 0xbf167918, v31
	v_fmac_f32_e32 v35, 0x3e9e377a, v33
	v_fmac_f32_e32 v11, 0x3e9e377a, v33
	v_add_f32_e32 v33, v30, v36
	v_sub_u32_e32 v9, 0, v7
	v_add_f32_e32 v7, v8, v30
	v_fmac_f32_e32 v8, -0.5, v33
	v_mov_b32_e32 v33, v8
	v_add_f32_e32 v7, v7, v32
	v_fmac_f32_e32 v33, 0xbf737871, v31
	v_sub_f32_e32 v30, v32, v30
	v_sub_f32_e32 v32, v34, v36
	v_fmac_f32_e32 v8, 0x3f737871, v31
	v_fmac_f32_e32 v33, 0x3f167918, v29
	v_add_f32_e32 v30, v30, v32
	v_fmac_f32_e32 v8, 0xbf167918, v29
	v_fmac_f32_e32 v33, 0x3e9e377a, v30
	;; [unrolled: 1-line block ×3, first 2 shown]
	v_add_f32_e32 v30, v24, v26
	v_fma_f32 v30, -0.5, v30, v10
	v_sub_f32_e32 v21, v21, v27
	v_mov_b32_e32 v27, v30
	v_fmac_f32_e32 v27, 0x3f737871, v21
	v_sub_f32_e32 v23, v23, v25
	v_sub_f32_e32 v25, v22, v24
	;; [unrolled: 1-line block ×3, first 2 shown]
	v_fmac_f32_e32 v30, 0xbf737871, v21
	v_fmac_f32_e32 v27, 0x3f167918, v23
	v_add_f32_e32 v25, v25, v31
	v_fmac_f32_e32 v30, 0xbf167918, v23
	v_fmac_f32_e32 v27, 0x3e9e377a, v25
	;; [unrolled: 1-line block ×3, first 2 shown]
	v_add_f32_e32 v25, v22, v28
	v_add_f32_e32 v29, v10, v22
	v_fmac_f32_e32 v10, -0.5, v25
	v_mov_b32_e32 v25, v10
	v_add_f32_e32 v29, v29, v24
	v_fmac_f32_e32 v25, 0xbf737871, v23
	v_sub_f32_e32 v22, v24, v22
	v_sub_f32_e32 v24, v26, v28
	v_fmac_f32_e32 v10, 0x3f737871, v23
	v_fmac_f32_e32 v25, 0x3f167918, v21
	v_add_f32_e32 v22, v22, v24
	v_fmac_f32_e32 v10, 0xbf167918, v21
	v_fmac_f32_e32 v25, 0x3e9e377a, v22
	;; [unrolled: 1-line block ×3, first 2 shown]
	v_add_f32_e32 v22, v16, v18
	v_fma_f32 v22, -0.5, v22, v12
	v_sub_f32_e32 v13, v13, v19
	v_mov_b32_e32 v19, v22
	v_fmac_f32_e32 v19, 0x3f737871, v13
	v_sub_f32_e32 v15, v15, v17
	v_sub_f32_e32 v17, v14, v16
	;; [unrolled: 1-line block ×3, first 2 shown]
	v_fmac_f32_e32 v22, 0xbf737871, v13
	v_fmac_f32_e32 v19, 0x3f167918, v15
	v_add_f32_e32 v17, v17, v23
	v_fmac_f32_e32 v22, 0xbf167918, v15
	v_fmac_f32_e32 v19, 0x3e9e377a, v17
	;; [unrolled: 1-line block ×3, first 2 shown]
	v_add_f32_e32 v17, v14, v20
	v_add_f32_e32 v21, v12, v14
	v_fmac_f32_e32 v12, -0.5, v17
	v_mov_b32_e32 v17, v12
	v_fmac_f32_e32 v17, 0xbf737871, v15
	v_fmac_f32_e32 v12, 0x3f737871, v15
	;; [unrolled: 1-line block ×4, first 2 shown]
	v_add_f32_e32 v13, v38, v6
	v_add_f32_e32 v13, v40, v13
	;; [unrolled: 1-line block ×7, first 2 shown]
	v_sub_f32_e32 v14, v16, v14
	v_sub_f32_e32 v16, v18, v20
	v_fma_f32 v34, -0.5, v13, v6
	v_add_f32_e32 v14, v14, v16
	v_sub_f32_e32 v13, v37, v43
	v_mov_b32_e32 v43, v34
	v_fmac_f32_e32 v17, 0x3e9e377a, v14
	v_fmac_f32_e32 v12, 0x3e9e377a, v14
	;; [unrolled: 1-line block ×3, first 2 shown]
	v_sub_f32_e32 v14, v39, v41
	v_sub_f32_e32 v15, v38, v40
	;; [unrolled: 1-line block ×3, first 2 shown]
	v_fmac_f32_e32 v34, 0xbf737871, v13
	v_fmac_f32_e32 v43, 0x3f167918, v14
	v_add_f32_e32 v15, v16, v15
	v_fmac_f32_e32 v34, 0xbf167918, v14
	v_fmac_f32_e32 v43, 0x3e9e377a, v15
	;; [unrolled: 1-line block ×3, first 2 shown]
	v_add_f32_e32 v15, v44, v38
	v_fmac_f32_e32 v6, -0.5, v15
	v_mov_b32_e32 v37, v6
	v_fmac_f32_e32 v37, 0xbf737871, v14
	v_sub_f32_e32 v15, v40, v38
	v_sub_f32_e32 v16, v42, v44
	v_fmac_f32_e32 v6, 0x3f737871, v14
	v_fmac_f32_e32 v37, 0x3f167918, v13
	v_add_f32_e32 v15, v16, v15
	v_fmac_f32_e32 v6, 0xbf167918, v13
	v_add_f32_e32 v7, v7, v36
	v_add_f32_e32 v29, v29, v26
	;; [unrolled: 1-line block ×3, first 2 shown]
	v_fmac_f32_e32 v37, 0x3e9e377a, v15
	v_fmac_f32_e32 v6, 0x3e9e377a, v15
	v_add_u32_e32 v32, 0x177, v58
	v_add_f32_e32 v29, v29, v28
	v_add_f32_e32 v21, v21, v20
	s_waitcnt lgkmcnt(0)
	s_barrier
	ds_write2_b32 v68, v7, v35 offset1:1
	ds_write2_b32 v68, v33, v8 offset0:2 offset1:3
	ds_write_b32 v68, v11 offset:16
	ds_write2_b32 v69, v29, v27 offset1:1
	ds_write2_b32 v69, v25, v10 offset0:2 offset1:3
	ds_write_b32 v69, v30 offset:16
	;; [unrolled: 3-line block ×3, first 2 shown]
	s_and_saveexec_b64 s[6:7], s[0:1]
	s_cbranch_execz .LBB0_21
; %bb.20:
	v_mad_u32_u24 v7, v32, 20, 0
	ds_write2_b32 v7, v31, v43 offset1:1
	ds_write2_b32 v7, v37, v6 offset0:2 offset1:3
	ds_write_b32 v7, v34 offset:16
.LBB0_21:
	s_or_b64 exec, exec, s[6:7]
	v_add_u32_e32 v7, 0x600, v0
	s_waitcnt lgkmcnt(0)
	s_barrier
	ds_read2_b32 v[17:18], v7 offset0:16 offset1:141
	v_add_u32_e32 v7, 0xa00, v0
	ds_read2_b32 v[11:12], v7 offset0:10 offset1:160
	v_add_u32_e32 v7, 0x1200, v0
	v_add_u32_e32 v29, v69, v9
	;; [unrolled: 1-line block ×3, first 2 shown]
	ds_read2_b32 v[15:16], v7 offset0:48 offset1:173
	v_add_u32_e32 v7, 0x1600, v0
	ds_read2_b32 v[13:14], v9 offset0:29 offset1:154
	v_add_u32_e32 v9, 0x1a00, v0
	ds_read2_b32 v[7:8], v7 offset0:42 offset1:192
	ds_read2_b32 v[9:10], v9 offset0:61 offset1:186
	v_add_u32_e32 v30, v70, v71
	ds_read_b32 v21, v0
	ds_read_b32 v20, v29
	;; [unrolled: 1-line block ×3, first 2 shown]
	s_and_saveexec_b64 s[6:7], s[0:1]
	s_cbranch_execz .LBB0_23
; %bb.22:
	ds_read_b32 v31, v0 offset:1500
	ds_read_b32 v43, v0 offset:3100
	;; [unrolled: 1-line block ×5, first 2 shown]
.LBB0_23:
	s_or_b64 exec, exec, s[6:7]
	s_movk_i32 s6, 0xcd
	v_mul_lo_u16_sdwa v22, v58, s6 dst_sel:DWORD dst_unused:UNUSED_PAD src0_sel:BYTE_0 src1_sel:DWORD
	v_lshrrev_b16_e32 v33, 10, v22
	v_mul_lo_u16_e32 v22, 5, v33
	v_sub_u16_e32 v22, v58, v22
	v_mov_b32_e32 v28, 2
	v_mov_b32_e32 v42, 5
	v_lshlrev_b32_sdwa v36, v28, v22 dst_sel:DWORD dst_unused:UNUSED_PAD src0_sel:DWORD src1_sel:BYTE_0
	v_lshlrev_b32_sdwa v22, v42, v22 dst_sel:DWORD dst_unused:UNUSED_PAD src0_sel:DWORD src1_sel:BYTE_0
	global_load_dwordx4 v[38:41], v22, s[12:13] offset:16
	global_load_dwordx4 v[68:71], v22, s[12:13]
	v_mul_u32_u24_e32 v33, 0x64, v33
	s_waitcnt vmcnt(1) lgkmcnt(4)
	v_mul_f32_e32 v35, v8, v41
	s_waitcnt vmcnt(0)
	v_mul_f32_e32 v22, v55, v69
	v_mul_f32_e32 v25, v17, v69
	v_fma_f32 v17, v17, v68, -v22
	v_mul_f32_e32 v22, v50, v71
	v_mul_f32_e32 v26, v12, v71
	v_fma_f32 v22, v12, v70, -v22
	v_mul_f32_e32 v12, v53, v39
	v_fma_f32 v23, v15, v38, -v12
	;; [unrolled: 2-line block ×3, first 2 shown]
	v_mul_lo_u16_sdwa v8, v59, s6 dst_sel:DWORD dst_unused:UNUSED_PAD src0_sel:BYTE_0 src1_sel:DWORD
	v_mul_f32_e32 v27, v15, v39
	v_lshrrev_b16_e32 v15, 10, v8
	v_mul_lo_u16_e32 v8, 5, v15
	v_sub_u16_e32 v8, v59, v8
	v_fmac_f32_e32 v27, v53, v38
	v_lshlrev_b32_sdwa v38, v28, v8 dst_sel:DWORD dst_unused:UNUSED_PAD src0_sel:DWORD src1_sel:BYTE_0
	v_lshlrev_b32_sdwa v8, v42, v8 dst_sel:DWORD dst_unused:UNUSED_PAD src0_sel:DWORD src1_sel:BYTE_0
	v_fmac_f32_e32 v25, v55, v68
	v_fmac_f32_e32 v26, v50, v70
	global_load_dwordx4 v[68:71], v8, s[12:13] offset:16
	global_load_dwordx4 v[72:75], v8, s[12:13]
	s_mov_b32 s6, 0xcccd
	v_fmac_f32_e32 v35, v46, v40
	s_waitcnt vmcnt(1)
	v_mul_f32_e32 v50, v16, v69
	s_waitcnt vmcnt(0)
	v_mul_f32_e32 v8, v56, v73
	v_mul_f32_e32 v41, v18, v73
	v_fma_f32 v18, v18, v72, -v8
	v_mul_f32_e32 v8, v51, v75
	v_fma_f32 v28, v13, v74, -v8
	;; [unrolled: 2-line block ×3, first 2 shown]
	v_mul_f32_e32 v8, v47, v71
	s_waitcnt lgkmcnt(3)
	v_fma_f32 v40, v9, v70, -v8
	v_mul_u32_u24_sdwa v8, v60, s6 dst_sel:DWORD dst_unused:UNUSED_PAD src0_sel:WORD_0 src1_sel:DWORD
	v_lshrrev_b32_e32 v16, 18, v8
	v_mul_lo_u16_e32 v8, 5, v16
	v_mul_f32_e32 v46, v13, v75
	v_sub_u16_e32 v8, v60, v8
	v_fmac_f32_e32 v46, v51, v74
	v_mul_f32_e32 v51, v9, v71
	v_lshlrev_b32_e32 v76, 2, v8
	v_lshlrev_b32_e32 v8, 5, v8
	v_fmac_f32_e32 v41, v56, v72
	v_fmac_f32_e32 v50, v54, v68
	;; [unrolled: 1-line block ×3, first 2 shown]
	global_load_dwordx4 v[68:71], v8, s[12:13] offset:16
	global_load_dwordx4 v[72:75], v8, s[12:13]
	s_waitcnt vmcnt(1)
	v_mul_f32_e32 v55, v10, v71
	s_waitcnt vmcnt(0)
	v_mul_f32_e32 v8, v49, v73
	v_mul_f32_e32 v53, v11, v73
	v_fma_f32 v47, v11, v72, -v8
	v_mul_f32_e32 v54, v14, v75
	v_mul_f32_e32 v8, v52, v75
	v_fmac_f32_e32 v53, v49, v72
	v_fmac_f32_e32 v54, v52, v74
	v_fma_f32 v49, v14, v74, -v8
	v_mul_f32_e32 v52, v7, v69
	v_mul_f32_e32 v8, v45, v69
	v_fmac_f32_e32 v52, v45, v68
	v_fma_f32 v45, v7, v68, -v8
	v_mul_f32_e32 v7, v48, v71
	v_fmac_f32_e32 v55, v48, v70
	v_fma_f32 v48, v10, v70, -v7
	v_mul_u32_u24_sdwa v7, v32, s6 dst_sel:DWORD dst_unused:UNUSED_PAD src0_sel:WORD_0 src1_sel:DWORD
	v_lshrrev_b32_e32 v74, 18, v7
	v_mul_lo_u16_e32 v7, 5, v74
	v_sub_u16_e32 v75, v32, v7
	v_lshlrev_b32_e32 v42, 5, v75
	global_load_dwordx4 v[7:10], v42, s[12:13] offset:16
	global_load_dwordx4 v[11:14], v42, s[12:13]
	v_sub_f32_e32 v42, v49, v45
	v_sub_f32_e32 v44, v55, v52
	s_waitcnt vmcnt(0) lgkmcnt(0)
	s_barrier
	v_mul_f32_e32 v70, v6, v8
	v_fmac_f32_e32 v70, v5, v7
	v_mul_f32_e32 v5, v5, v8
	v_fma_f32 v69, v6, v7, -v5
	v_add_f32_e32 v6, v26, v27
	v_mul_f32_e32 v68, v43, v12
	v_mul_f32_e32 v12, v67, v12
	v_fma_f32 v6, -0.5, v6, v64
	v_fmac_f32_e32 v68, v67, v11
	v_fma_f32 v56, v43, v11, -v12
	v_mul_f32_e32 v67, v37, v14
	v_mul_f32_e32 v11, v66, v14
	;; [unrolled: 1-line block ×4, first 2 shown]
	v_sub_f32_e32 v7, v17, v24
	v_mov_b32_e32 v8, v6
	v_fmac_f32_e32 v67, v66, v13
	v_fma_f32 v66, v37, v13, -v11
	v_fmac_f32_e32 v71, v65, v9
	v_fma_f32 v65, v34, v9, -v5
	v_fmac_f32_e32 v8, 0xbf737871, v7
	v_sub_f32_e32 v9, v22, v23
	v_sub_f32_e32 v10, v25, v26
	;; [unrolled: 1-line block ×3, first 2 shown]
	v_fmac_f32_e32 v6, 0x3f737871, v7
	v_fmac_f32_e32 v8, 0xbf167918, v9
	v_add_f32_e32 v10, v10, v11
	v_fmac_f32_e32 v6, 0x3f167918, v9
	v_fmac_f32_e32 v8, 0x3e9e377a, v10
	;; [unrolled: 1-line block ×3, first 2 shown]
	v_add_f32_e32 v10, v25, v35
	v_add_f32_e32 v5, v64, v25
	v_fmac_f32_e32 v64, -0.5, v10
	v_mov_b32_e32 v10, v64
	v_fmac_f32_e32 v10, 0x3f737871, v9
	v_sub_f32_e32 v11, v26, v25
	v_sub_f32_e32 v12, v27, v35
	v_fmac_f32_e32 v64, 0xbf737871, v9
	v_add_f32_e32 v9, v46, v50
	v_fmac_f32_e32 v10, 0xbf167918, v7
	v_add_f32_e32 v11, v11, v12
	v_fmac_f32_e32 v64, 0x3f167918, v7
	v_fma_f32 v9, -0.5, v9, v63
	v_fmac_f32_e32 v10, 0x3e9e377a, v11
	v_fmac_f32_e32 v64, 0x3e9e377a, v11
	v_sub_f32_e32 v11, v18, v40
	v_mov_b32_e32 v12, v9
	v_fmac_f32_e32 v12, 0xbf737871, v11
	v_sub_f32_e32 v13, v28, v39
	v_sub_f32_e32 v14, v41, v46
	;; [unrolled: 1-line block ×3, first 2 shown]
	v_fmac_f32_e32 v9, 0x3f737871, v11
	v_fmac_f32_e32 v12, 0xbf167918, v13
	v_add_f32_e32 v14, v14, v34
	v_fmac_f32_e32 v9, 0x3f167918, v13
	v_fmac_f32_e32 v12, 0x3e9e377a, v14
	;; [unrolled: 1-line block ×3, first 2 shown]
	v_add_f32_e32 v14, v41, v51
	v_add_f32_e32 v7, v63, v41
	v_fmac_f32_e32 v63, -0.5, v14
	v_mov_b32_e32 v14, v63
	v_fmac_f32_e32 v14, 0x3f737871, v13
	v_sub_f32_e32 v34, v46, v41
	v_sub_f32_e32 v37, v50, v51
	v_fmac_f32_e32 v63, 0xbf737871, v13
	v_add_f32_e32 v13, v54, v52
	v_fmac_f32_e32 v14, 0xbf167918, v11
	v_add_f32_e32 v34, v34, v37
	v_fmac_f32_e32 v63, 0x3f167918, v11
	v_fma_f32 v13, -0.5, v13, v62
	v_fmac_f32_e32 v14, 0x3e9e377a, v34
	v_fmac_f32_e32 v63, 0x3e9e377a, v34
	v_sub_f32_e32 v34, v47, v48
	v_mov_b32_e32 v37, v13
	v_fmac_f32_e32 v37, 0xbf737871, v34
	v_sub_f32_e32 v43, v53, v54
	v_fmac_f32_e32 v13, 0x3f737871, v34
	v_fmac_f32_e32 v37, 0xbf167918, v42
	v_add_f32_e32 v43, v43, v44
	v_fmac_f32_e32 v13, 0x3f167918, v42
	v_fmac_f32_e32 v37, 0x3e9e377a, v43
	;; [unrolled: 1-line block ×3, first 2 shown]
	v_add_f32_e32 v43, v53, v55
	v_add_f32_e32 v11, v62, v53
	v_fmac_f32_e32 v62, -0.5, v43
	v_mov_b32_e32 v77, v62
	v_fmac_f32_e32 v77, 0x3f737871, v42
	v_sub_f32_e32 v43, v54, v53
	v_sub_f32_e32 v44, v52, v55
	v_fmac_f32_e32 v62, 0xbf737871, v42
	v_add_f32_e32 v42, v67, v70
	v_fmac_f32_e32 v77, 0xbf167918, v34
	v_add_f32_e32 v43, v43, v44
	v_fmac_f32_e32 v62, 0x3f167918, v34
	v_fma_f32 v42, -0.5, v42, v61
	v_fmac_f32_e32 v77, 0x3e9e377a, v43
	v_fmac_f32_e32 v62, 0x3e9e377a, v43
	v_sub_f32_e32 v72, v56, v65
	v_mov_b32_e32 v43, v42
	v_fmac_f32_e32 v43, 0xbf737871, v72
	v_sub_f32_e32 v73, v66, v69
	v_sub_f32_e32 v44, v68, v67
	;; [unrolled: 1-line block ×3, first 2 shown]
	v_fmac_f32_e32 v42, 0x3f737871, v72
	v_fmac_f32_e32 v43, 0xbf167918, v73
	v_add_f32_e32 v44, v44, v78
	v_fmac_f32_e32 v42, 0x3f167918, v73
	v_fmac_f32_e32 v43, 0x3e9e377a, v44
	;; [unrolled: 1-line block ×3, first 2 shown]
	v_add_f32_e32 v44, v68, v71
	v_add_f32_e32 v34, v61, v68
	v_fmac_f32_e32 v61, -0.5, v44
	v_add_f32_e32 v5, v5, v26
	v_mov_b32_e32 v44, v61
	v_add_f32_e32 v5, v5, v27
	v_fmac_f32_e32 v44, 0x3f737871, v73
	v_fmac_f32_e32 v61, 0xbf737871, v73
	v_add_f32_e32 v5, v5, v35
	v_fmac_f32_e32 v44, 0xbf167918, v72
	v_fmac_f32_e32 v61, 0x3f167918, v72
	v_add3_u32 v72, 0, v33, v36
	v_add_f32_e32 v7, v7, v46
	v_add_f32_e32 v11, v11, v54
	ds_write2_b32 v72, v5, v8 offset1:5
	ds_write2_b32 v72, v10, v64 offset0:10 offset1:15
	ds_write_b32 v72, v6 offset:80
	v_mul_u32_u24_e32 v5, 0x64, v15
	v_add_f32_e32 v7, v7, v50
	v_add_f32_e32 v11, v11, v52
	v_add_f32_e32 v34, v34, v67
	v_sub_f32_e32 v78, v67, v68
	v_sub_f32_e32 v79, v70, v71
	v_add3_u32 v64, 0, v5, v38
	v_mul_u32_u24_e32 v5, 0x64, v16
	v_add_f32_e32 v7, v7, v51
	v_add_f32_e32 v11, v11, v55
	;; [unrolled: 1-line block ×4, first 2 shown]
	v_add3_u32 v73, 0, v5, v76
	v_add_f32_e32 v34, v34, v71
	v_fmac_f32_e32 v44, 0x3e9e377a, v78
	v_fmac_f32_e32 v61, 0x3e9e377a, v78
	ds_write2_b32 v64, v7, v12 offset1:5
	ds_write2_b32 v64, v14, v63 offset0:10 offset1:15
	ds_write_b32 v64, v9 offset:80
	ds_write2_b32 v73, v11, v37 offset1:5
	ds_write2_b32 v73, v77, v62 offset0:10 offset1:15
	ds_write_b32 v73, v13 offset:80
	v_mul_lo_u16_e32 v62, 25, v74
	v_lshlrev_b32_e32 v63, 2, v75
	s_and_saveexec_b64 s[6:7], s[0:1]
	s_cbranch_execz .LBB0_25
; %bb.24:
	v_lshlrev_b32_e32 v5, 2, v62
	v_add3_u32 v5, 0, v63, v5
	ds_write2_b32 v5, v34, v43 offset1:5
	ds_write2_b32 v5, v44, v61 offset0:10 offset1:15
	ds_write_b32 v5, v42 offset:80
.LBB0_25:
	s_or_b64 exec, exec, s[6:7]
	v_add_u32_e32 v5, 0x600, v0
	s_waitcnt lgkmcnt(0)
	s_barrier
	ds_read2_b32 v[15:16], v5 offset0:16 offset1:141
	v_add_u32_e32 v5, 0xa00, v0
	ds_read2_b32 v[9:10], v5 offset0:10 offset1:160
	v_add_u32_e32 v5, 0x1200, v0
	v_add_u32_e32 v7, 0xe00, v0
	ds_read2_b32 v[13:14], v5 offset0:48 offset1:173
	v_add_u32_e32 v5, 0x1600, v0
	ds_read2_b32 v[11:12], v7 offset0:29 offset1:154
	;; [unrolled: 2-line block ×3, first 2 shown]
	ds_read2_b32 v[7:8], v7 offset0:61 offset1:186
	ds_read_b32 v38, v0
	ds_read_b32 v37, v29
	;; [unrolled: 1-line block ×3, first 2 shown]
	v_lshl_add_u32 v33, v58, 2, 0
	s_and_saveexec_b64 s[6:7], s[0:1]
	s_cbranch_execz .LBB0_27
; %bb.26:
	ds_read_b32 v43, v0 offset:3100
	ds_read_b32 v44, v0 offset:4700
	;; [unrolled: 1-line block ×5, first 2 shown]
.LBB0_27:
	s_or_b64 exec, exec, s[6:7]
	v_add_f32_e32 v75, v22, v23
	v_fma_f32 v75, -0.5, v75, v21
	v_sub_f32_e32 v25, v25, v35
	v_mov_b32_e32 v76, v75
	v_fmac_f32_e32 v76, 0x3f737871, v25
	v_sub_f32_e32 v26, v26, v27
	v_sub_f32_e32 v27, v17, v22
	;; [unrolled: 1-line block ×3, first 2 shown]
	v_fmac_f32_e32 v75, 0xbf737871, v25
	v_add_f32_e32 v74, v21, v17
	v_fmac_f32_e32 v76, 0x3f167918, v26
	v_add_f32_e32 v27, v27, v35
	v_fmac_f32_e32 v75, 0xbf167918, v26
	v_add_f32_e32 v74, v74, v22
	v_fmac_f32_e32 v76, 0x3e9e377a, v27
	v_fmac_f32_e32 v75, 0x3e9e377a, v27
	v_add_f32_e32 v27, v17, v24
	v_sub_f32_e32 v17, v22, v17
	v_sub_f32_e32 v22, v23, v24
	v_fmac_f32_e32 v21, -0.5, v27
	v_add_f32_e32 v17, v17, v22
	v_add_f32_e32 v22, v28, v39
	;; [unrolled: 1-line block ×3, first 2 shown]
	v_mov_b32_e32 v27, v21
	v_fma_f32 v22, -0.5, v22, v20
	v_add_f32_e32 v74, v74, v24
	v_fmac_f32_e32 v27, 0xbf737871, v26
	v_fmac_f32_e32 v21, 0x3f737871, v26
	v_sub_f32_e32 v23, v41, v51
	v_mov_b32_e32 v24, v22
	v_fmac_f32_e32 v27, 0x3f167918, v25
	v_fmac_f32_e32 v21, 0xbf167918, v25
	v_fmac_f32_e32 v24, 0x3f737871, v23
	v_sub_f32_e32 v25, v46, v50
	v_sub_f32_e32 v26, v18, v28
	;; [unrolled: 1-line block ×3, first 2 shown]
	v_fmac_f32_e32 v22, 0xbf737871, v23
	v_fmac_f32_e32 v24, 0x3f167918, v25
	v_add_f32_e32 v26, v26, v35
	v_fmac_f32_e32 v22, 0xbf167918, v25
	v_fmac_f32_e32 v24, 0x3e9e377a, v26
	;; [unrolled: 1-line block ×3, first 2 shown]
	v_add_f32_e32 v26, v18, v40
	v_fmac_f32_e32 v27, 0x3e9e377a, v17
	v_fmac_f32_e32 v21, 0x3e9e377a, v17
	v_add_f32_e32 v17, v20, v18
	v_fmac_f32_e32 v20, -0.5, v26
	v_mov_b32_e32 v26, v20
	v_fmac_f32_e32 v26, 0xbf737871, v25
	v_fmac_f32_e32 v20, 0x3f737871, v25
	;; [unrolled: 1-line block ×4, first 2 shown]
	v_add_f32_e32 v23, v49, v45
	v_add_f32_e32 v17, v17, v28
	v_sub_f32_e32 v18, v28, v18
	v_sub_f32_e32 v28, v39, v40
	v_fma_f32 v23, -0.5, v23, v19
	v_add_f32_e32 v17, v17, v39
	v_add_f32_e32 v18, v18, v28
	v_sub_f32_e32 v25, v53, v55
	v_mov_b32_e32 v28, v23
	v_add_f32_e32 v17, v17, v40
	v_fmac_f32_e32 v28, 0x3f737871, v25
	v_sub_f32_e32 v35, v54, v52
	v_sub_f32_e32 v39, v47, v49
	;; [unrolled: 1-line block ×3, first 2 shown]
	v_fmac_f32_e32 v23, 0xbf737871, v25
	v_fmac_f32_e32 v28, 0x3f167918, v35
	v_add_f32_e32 v39, v39, v40
	v_fmac_f32_e32 v23, 0xbf167918, v35
	v_fmac_f32_e32 v28, 0x3e9e377a, v39
	;; [unrolled: 1-line block ×3, first 2 shown]
	v_add_f32_e32 v39, v47, v48
	v_fmac_f32_e32 v26, 0x3e9e377a, v18
	v_fmac_f32_e32 v20, 0x3e9e377a, v18
	v_add_f32_e32 v18, v19, v47
	v_fmac_f32_e32 v19, -0.5, v39
	v_mov_b32_e32 v39, v19
	v_fmac_f32_e32 v39, 0xbf737871, v35
	v_fmac_f32_e32 v19, 0x3f737871, v35
	;; [unrolled: 1-line block ×4, first 2 shown]
	v_add_f32_e32 v25, v31, v56
	v_add_f32_e32 v25, v25, v66
	;; [unrolled: 1-line block ×5, first 2 shown]
	v_sub_f32_e32 v40, v49, v47
	v_sub_f32_e32 v41, v45, v48
	v_fma_f32 v46, -0.5, v25, v31
	v_add_f32_e32 v18, v18, v49
	v_add_f32_e32 v40, v40, v41
	v_sub_f32_e32 v25, v68, v71
	v_mov_b32_e32 v47, v46
	v_add_f32_e32 v18, v18, v45
	v_fmac_f32_e32 v39, 0x3e9e377a, v40
	v_fmac_f32_e32 v19, 0x3e9e377a, v40
	;; [unrolled: 1-line block ×3, first 2 shown]
	v_sub_f32_e32 v40, v67, v70
	v_sub_f32_e32 v41, v56, v66
	;; [unrolled: 1-line block ×3, first 2 shown]
	v_fmac_f32_e32 v46, 0xbf737871, v25
	v_fmac_f32_e32 v47, 0x3f167918, v40
	v_add_f32_e32 v41, v41, v45
	v_fmac_f32_e32 v46, 0xbf167918, v40
	v_fmac_f32_e32 v47, 0x3e9e377a, v41
	;; [unrolled: 1-line block ×3, first 2 shown]
	v_add_f32_e32 v41, v56, v65
	v_fmac_f32_e32 v31, -0.5, v41
	v_add_f32_e32 v18, v18, v48
	v_mov_b32_e32 v48, v31
	v_fmac_f32_e32 v48, 0xbf737871, v40
	v_sub_f32_e32 v41, v66, v56
	v_sub_f32_e32 v45, v69, v65
	v_fmac_f32_e32 v31, 0x3f737871, v40
	v_fmac_f32_e32 v48, 0x3f167918, v25
	v_add_f32_e32 v41, v41, v45
	v_fmac_f32_e32 v31, 0xbf167918, v25
	v_fmac_f32_e32 v48, 0x3e9e377a, v41
	;; [unrolled: 1-line block ×3, first 2 shown]
	s_waitcnt lgkmcnt(0)
	s_barrier
	ds_write2_b32 v72, v74, v76 offset1:5
	ds_write2_b32 v72, v27, v21 offset0:10 offset1:15
	ds_write_b32 v72, v75 offset:80
	ds_write2_b32 v64, v17, v24 offset1:5
	ds_write2_b32 v64, v26, v20 offset0:10 offset1:15
	ds_write_b32 v64, v22 offset:80
	;; [unrolled: 3-line block ×3, first 2 shown]
	s_and_saveexec_b64 s[6:7], s[0:1]
	s_cbranch_execz .LBB0_29
; %bb.28:
	v_lshlrev_b32_e32 v17, 2, v62
	v_add3_u32 v17, 0, v63, v17
	ds_write2_b32 v17, v35, v47 offset1:5
	ds_write2_b32 v17, v48, v31 offset0:10 offset1:15
	ds_write_b32 v17, v46 offset:80
.LBB0_29:
	s_or_b64 exec, exec, s[6:7]
	v_add_u32_e32 v17, 0x600, v0
	s_waitcnt lgkmcnt(0)
	s_barrier
	ds_read2_b32 v[27:28], v17 offset0:16 offset1:141
	v_add_u32_e32 v17, 0xa00, v0
	ds_read2_b32 v[21:22], v17 offset0:10 offset1:160
	v_add_u32_e32 v17, 0x1200, v0
	v_add_u32_e32 v19, 0xe00, v0
	ds_read2_b32 v[25:26], v17 offset0:48 offset1:173
	v_add_u32_e32 v17, 0x1600, v0
	ds_read2_b32 v[23:24], v19 offset0:29 offset1:154
	;; [unrolled: 2-line block ×3, first 2 shown]
	ds_read2_b32 v[19:20], v19 offset0:61 offset1:186
	ds_read_b32 v41, v0
	ds_read_b32 v40, v29
	;; [unrolled: 1-line block ×3, first 2 shown]
	s_and_saveexec_b64 s[6:7], s[0:1]
	s_cbranch_execz .LBB0_31
; %bb.30:
	ds_read_b32 v47, v0 offset:3100
	ds_read_b32 v48, v0 offset:4700
	ds_read_b32 v31, v0 offset:6300
	ds_read_b32 v35, v33 offset:1500
	ds_read_b32 v46, v0 offset:7900
.LBB0_31:
	s_or_b64 exec, exec, s[6:7]
	v_mov_b32_e32 v62, 41
	v_mul_lo_u16_sdwa v45, v58, v62 dst_sel:DWORD dst_unused:UNUSED_PAD src0_sel:BYTE_0 src1_sel:DWORD
	v_lshrrev_b16_e32 v63, 10, v45
	v_mul_lo_u16_e32 v45, 25, v63
	v_sub_u16_e32 v45, v58, v45
	v_mov_b32_e32 v64, 2
	v_mov_b32_e32 v66, 5
	v_lshlrev_b32_sdwa v65, v64, v45 dst_sel:DWORD dst_unused:UNUSED_PAD src0_sel:DWORD src1_sel:BYTE_0
	v_lshlrev_b32_sdwa v45, v66, v45 dst_sel:DWORD dst_unused:UNUSED_PAD src0_sel:DWORD src1_sel:BYTE_0
	global_load_dwordx4 v[49:52], v45, s[12:13] offset:176
	global_load_dwordx4 v[53:56], v45, s[12:13] offset:160
	s_movk_i32 s6, 0x47af
	s_waitcnt vmcnt(0) lgkmcnt(8)
	v_mul_f32_e32 v45, v27, v54
	v_fmac_f32_e32 v45, v15, v53
	v_mul_f32_e32 v15, v15, v54
	v_fma_f32 v15, v27, v53, -v15
	s_waitcnt lgkmcnt(7)
	v_mul_f32_e32 v27, v22, v56
	v_fmac_f32_e32 v27, v10, v55
	v_mul_f32_e32 v10, v10, v56
	v_fma_f32 v10, v22, v55, -v10
	s_waitcnt lgkmcnt(6)
	;; [unrolled: 5-line block ×3, first 2 shown]
	v_mul_f32_e32 v25, v18, v52
	v_fmac_f32_e32 v25, v6, v51
	v_mul_f32_e32 v6, v6, v52
	v_fma_f32 v6, v18, v51, -v6
	v_mul_lo_u16_sdwa v18, v59, v62 dst_sel:DWORD dst_unused:UNUSED_PAD src0_sel:BYTE_0 src1_sel:DWORD
	v_lshrrev_b16_e32 v62, 10, v18
	v_mul_lo_u16_e32 v18, 25, v62
	v_sub_u16_e32 v18, v59, v18
	v_lshlrev_b32_sdwa v59, v64, v18 dst_sel:DWORD dst_unused:UNUSED_PAD src0_sel:DWORD src1_sel:BYTE_0
	v_lshlrev_b32_sdwa v18, v66, v18 dst_sel:DWORD dst_unused:UNUSED_PAD src0_sel:DWORD src1_sel:BYTE_0
	global_load_dwordx4 v[49:52], v18, s[12:13] offset:176
	global_load_dwordx4 v[53:56], v18, s[12:13] offset:160
	s_waitcnt vmcnt(0)
	v_mul_f32_e32 v18, v28, v54
	v_fmac_f32_e32 v18, v16, v53
	v_mul_f32_e32 v16, v16, v54
	v_fma_f32 v16, v28, v53, -v16
	v_mul_f32_e32 v28, v23, v56
	v_fmac_f32_e32 v28, v11, v55
	v_mul_f32_e32 v11, v11, v56
	v_fma_f32 v11, v23, v55, -v11
	;; [unrolled: 4-line block ×3, first 2 shown]
	s_waitcnt lgkmcnt(3)
	v_mul_f32_e32 v26, v19, v52
	v_fmac_f32_e32 v26, v7, v51
	v_mul_f32_e32 v7, v7, v52
	v_fma_f32 v7, v19, v51, -v7
	v_mul_u32_u24_sdwa v19, v60, s6 dst_sel:DWORD dst_unused:UNUSED_PAD src0_sel:WORD_0 src1_sel:DWORD
	v_sub_u16_sdwa v49, v60, v19 dst_sel:DWORD dst_unused:UNUSED_PAD src0_sel:DWORD src1_sel:WORD_1
	v_lshrrev_b16_e32 v49, 1, v49
	v_add_u16_sdwa v19, v49, v19 dst_sel:DWORD dst_unused:UNUSED_PAD src0_sel:DWORD src1_sel:WORD_1
	v_lshrrev_b16_e32 v64, 4, v19
	v_mul_lo_u16_e32 v19, 25, v64
	v_sub_u16_e32 v19, v60, v19
	v_lshlrev_b32_e32 v60, 2, v19
	v_lshlrev_b32_e32 v19, 5, v19
	global_load_dwordx4 v[49:52], v19, s[12:13] offset:176
	global_load_dwordx4 v[53:56], v19, s[12:13] offset:160
	v_sub_f32_e32 v67, v26, v23
	v_sub_f32_e32 v68, v23, v26
	s_waitcnt vmcnt(0)
	v_mul_f32_e32 v19, v21, v54
	v_fmac_f32_e32 v19, v9, v53
	v_mul_f32_e32 v9, v9, v54
	v_fma_f32 v9, v21, v53, -v9
	v_mul_f32_e32 v21, v24, v56
	v_fmac_f32_e32 v21, v12, v55
	v_mul_f32_e32 v12, v12, v56
	v_fma_f32 v12, v24, v55, -v12
	;; [unrolled: 4-line block ×4, first 2 shown]
	v_mul_u32_u24_sdwa v20, v32, s6 dst_sel:DWORD dst_unused:UNUSED_PAD src0_sel:WORD_0 src1_sel:DWORD
	v_sub_u16_sdwa v49, v32, v20 dst_sel:DWORD dst_unused:UNUSED_PAD src0_sel:DWORD src1_sel:WORD_1
	v_lshrrev_b16_e32 v49, 1, v49
	v_add_u16_sdwa v20, v49, v20 dst_sel:DWORD dst_unused:UNUSED_PAD src0_sel:DWORD src1_sel:WORD_1
	v_lshrrev_b16_e32 v20, 4, v20
	v_mul_lo_u16_e32 v20, 25, v20
	v_sub_u16_e32 v66, v32, v20
	v_lshlrev_b32_e32 v20, 5, v66
	global_load_dwordx4 v[49:52], v20, s[12:13] offset:176
	global_load_dwordx4 v[53:56], v20, s[12:13] offset:160
	v_sub_f32_e32 v69, v12, v5
	v_sub_f32_e32 v70, v19, v21
	v_sub_f32_e32 v71, v17, v24
	v_add_f32_e32 v70, v70, v71
	s_waitcnt vmcnt(0) lgkmcnt(0)
	s_barrier
	v_sub_f32_e32 v71, v21, v19
	v_sub_f32_e32 v72, v24, v17
	v_add_f32_e32 v71, v71, v72
	v_mul_f32_e32 v32, v47, v54
	v_fmac_f32_e32 v32, v43, v53
	v_mul_f32_e32 v20, v43, v54
	v_mul_f32_e32 v43, v44, v56
	v_fma_f32 v20, v47, v53, -v20
	v_mul_f32_e32 v47, v48, v56
	v_fma_f32 v43, v48, v55, -v43
	v_mul_f32_e32 v48, v61, v50
	v_fmac_f32_e32 v47, v44, v55
	v_mul_f32_e32 v44, v31, v50
	v_fma_f32 v31, v31, v49, -v48
	v_mul_f32_e32 v48, v46, v52
	v_fmac_f32_e32 v48, v42, v51
	v_mul_f32_e32 v42, v42, v52
	v_fma_f32 v42, v46, v51, -v42
	v_add_f32_e32 v46, v38, v45
	v_add_f32_e32 v46, v46, v27
	v_add_f32_e32 v46, v46, v22
	v_fmac_f32_e32 v44, v61, v49
	v_add_f32_e32 v49, v46, v25
	v_add_f32_e32 v46, v27, v22
	v_fma_f32 v50, -0.5, v46, v38
	v_sub_f32_e32 v46, v15, v6
	v_mov_b32_e32 v51, v50
	v_fmac_f32_e32 v51, 0xbf737871, v46
	v_sub_f32_e32 v52, v10, v13
	v_sub_f32_e32 v53, v45, v27
	;; [unrolled: 1-line block ×3, first 2 shown]
	v_fmac_f32_e32 v50, 0x3f737871, v46
	v_fmac_f32_e32 v51, 0xbf167918, v52
	v_add_f32_e32 v53, v53, v54
	v_fmac_f32_e32 v50, 0x3f167918, v52
	v_fmac_f32_e32 v51, 0x3e9e377a, v53
	;; [unrolled: 1-line block ×3, first 2 shown]
	v_add_f32_e32 v53, v45, v25
	v_fmac_f32_e32 v38, -0.5, v53
	v_mov_b32_e32 v53, v38
	v_fmac_f32_e32 v53, 0x3f737871, v52
	v_fmac_f32_e32 v38, 0xbf737871, v52
	;; [unrolled: 1-line block ×4, first 2 shown]
	v_add_f32_e32 v46, v37, v18
	v_add_f32_e32 v46, v46, v28
	v_sub_f32_e32 v54, v27, v45
	v_sub_f32_e32 v55, v22, v25
	v_add_f32_e32 v46, v46, v23
	v_add_f32_e32 v54, v54, v55
	;; [unrolled: 1-line block ×4, first 2 shown]
	v_fmac_f32_e32 v53, 0x3e9e377a, v54
	v_fmac_f32_e32 v38, 0x3e9e377a, v54
	v_fma_f32 v54, -0.5, v46, v37
	v_sub_f32_e32 v46, v16, v7
	v_mov_b32_e32 v55, v54
	v_fmac_f32_e32 v55, 0xbf737871, v46
	v_sub_f32_e32 v56, v11, v14
	v_sub_f32_e32 v61, v18, v28
	v_fmac_f32_e32 v54, 0x3f737871, v46
	v_fmac_f32_e32 v55, 0xbf167918, v56
	v_add_f32_e32 v61, v61, v67
	v_fmac_f32_e32 v54, 0x3f167918, v56
	v_fmac_f32_e32 v55, 0x3e9e377a, v61
	;; [unrolled: 1-line block ×3, first 2 shown]
	v_add_f32_e32 v61, v18, v26
	v_fmac_f32_e32 v37, -0.5, v61
	v_mov_b32_e32 v61, v37
	v_fmac_f32_e32 v61, 0x3f737871, v56
	v_fmac_f32_e32 v37, 0xbf737871, v56
	v_fmac_f32_e32 v61, 0xbf167918, v46
	v_fmac_f32_e32 v37, 0x3f167918, v46
	v_add_f32_e32 v46, v36, v19
	v_add_f32_e32 v46, v46, v21
	v_sub_f32_e32 v67, v28, v18
	v_add_f32_e32 v46, v46, v24
	v_add_f32_e32 v67, v67, v68
	;; [unrolled: 1-line block ×4, first 2 shown]
	v_fmac_f32_e32 v61, 0x3e9e377a, v67
	v_fmac_f32_e32 v37, 0x3e9e377a, v67
	v_fma_f32 v67, -0.5, v46, v36
	v_sub_f32_e32 v46, v9, v8
	v_mov_b32_e32 v68, v67
	v_fmac_f32_e32 v68, 0xbf737871, v46
	v_fmac_f32_e32 v67, 0x3f737871, v46
	;; [unrolled: 1-line block ×6, first 2 shown]
	v_add_f32_e32 v70, v19, v17
	v_fmac_f32_e32 v36, -0.5, v70
	v_mov_b32_e32 v70, v36
	v_fmac_f32_e32 v70, 0x3f737871, v69
	v_fmac_f32_e32 v36, 0xbf737871, v69
	;; [unrolled: 1-line block ×4, first 2 shown]
	v_mul_u32_u24_e32 v46, 0x1f4, v63
	v_add3_u32 v46, 0, v46, v65
	ds_write2_b32 v46, v49, v51 offset1:25
	ds_write2_b32 v46, v53, v38 offset0:50 offset1:75
	ds_write_b32 v46, v50 offset:400
	v_mul_u32_u24_e32 v38, 0x1f4, v62
	v_add3_u32 v38, 0, v38, v59
	ds_write2_b32 v38, v52, v55 offset1:25
	ds_write2_b32 v38, v61, v37 offset0:50 offset1:75
	ds_write_b32 v38, v54 offset:400
	v_mul_u32_u24_e32 v37, 0x1f4, v64
	v_fmac_f32_e32 v36, 0x3e9e377a, v71
	v_add3_u32 v37, 0, v37, v60
	v_fmac_f32_e32 v70, 0x3e9e377a, v71
	ds_write2_b32 v37, v56, v68 offset1:25
	ds_write2_b32 v37, v70, v36 offset0:50 offset1:75
	ds_write_b32 v37, v67 offset:400
	v_lshl_add_u32 v36, v66, 2, 0
	s_and_saveexec_b64 s[6:7], s[0:1]
	s_cbranch_execz .LBB0_33
; %bb.32:
	v_add_f32_e32 v51, v32, v48
	v_fma_f32 v51, -0.5, v51, v34
	v_sub_f32_e32 v49, v47, v32
	v_sub_f32_e32 v50, v44, v48
	;; [unrolled: 1-line block ×3, first 2 shown]
	v_mov_b32_e32 v53, v51
	v_add_f32_e32 v49, v49, v50
	v_sub_f32_e32 v50, v20, v42
	v_fmac_f32_e32 v53, 0xbf737871, v52
	v_fmac_f32_e32 v51, 0x3f737871, v52
	;; [unrolled: 1-line block ×6, first 2 shown]
	v_sub_f32_e32 v49, v32, v47
	v_sub_f32_e32 v54, v48, v44
	v_add_f32_e32 v49, v49, v54
	v_add_f32_e32 v54, v47, v44
	v_fma_f32 v54, -0.5, v54, v34
	v_mov_b32_e32 v55, v54
	v_add_f32_e32 v34, v34, v32
	v_fmac_f32_e32 v55, 0x3f737871, v50
	v_fmac_f32_e32 v54, 0xbf737871, v50
	v_add_f32_e32 v34, v34, v47
	v_fmac_f32_e32 v55, 0x3f167918, v52
	v_fmac_f32_e32 v54, 0xbf167918, v52
	;; [unrolled: 3-line block ×3, first 2 shown]
	v_add_f32_e32 v34, v34, v48
	v_add_u32_e32 v49, 0x1c00, v36
	ds_write2_b32 v49, v34, v54 offset0:83 offset1:108
	ds_write2_b32 v49, v51, v53 offset0:133 offset1:158
	ds_write_b32 v36, v55 offset:7900
.LBB0_33:
	s_or_b64 exec, exec, s[6:7]
	v_add_f32_e32 v49, v10, v13
	v_fma_f32 v49, -0.5, v49, v41
	v_sub_f32_e32 v25, v45, v25
	v_mov_b32_e32 v45, v49
	v_fmac_f32_e32 v45, 0x3f737871, v25
	v_sub_f32_e32 v22, v27, v22
	v_sub_f32_e32 v27, v15, v10
	;; [unrolled: 1-line block ×3, first 2 shown]
	v_fmac_f32_e32 v49, 0xbf737871, v25
	v_fmac_f32_e32 v45, 0x3f167918, v22
	v_add_f32_e32 v27, v27, v50
	v_fmac_f32_e32 v49, 0xbf167918, v22
	v_add_f32_e32 v34, v41, v15
	v_fmac_f32_e32 v45, 0x3e9e377a, v27
	v_fmac_f32_e32 v49, 0x3e9e377a, v27
	v_add_f32_e32 v27, v15, v6
	v_add_f32_e32 v34, v34, v10
	v_fmac_f32_e32 v41, -0.5, v27
	v_add_f32_e32 v34, v34, v13
	v_mov_b32_e32 v27, v41
	v_add_f32_e32 v34, v34, v6
	v_fmac_f32_e32 v27, 0xbf737871, v22
	v_sub_f32_e32 v10, v10, v15
	v_sub_f32_e32 v6, v13, v6
	v_fmac_f32_e32 v41, 0x3f737871, v22
	v_fmac_f32_e32 v27, 0x3f167918, v25
	v_add_f32_e32 v6, v10, v6
	v_fmac_f32_e32 v41, 0xbf167918, v25
	v_fmac_f32_e32 v27, 0x3e9e377a, v6
	;; [unrolled: 1-line block ×3, first 2 shown]
	v_add_f32_e32 v6, v40, v16
	v_add_f32_e32 v6, v6, v11
	;; [unrolled: 1-line block ×5, first 2 shown]
	v_fma_f32 v25, -0.5, v6, v40
	v_sub_f32_e32 v6, v18, v26
	v_mov_b32_e32 v26, v25
	v_fmac_f32_e32 v26, 0x3f737871, v6
	v_sub_f32_e32 v10, v28, v23
	v_sub_f32_e32 v13, v16, v11
	;; [unrolled: 1-line block ×3, first 2 shown]
	v_fmac_f32_e32 v25, 0xbf737871, v6
	v_fmac_f32_e32 v26, 0x3f167918, v10
	v_add_f32_e32 v13, v13, v15
	v_fmac_f32_e32 v25, 0xbf167918, v10
	v_fmac_f32_e32 v26, 0x3e9e377a, v13
	;; [unrolled: 1-line block ×3, first 2 shown]
	v_add_f32_e32 v13, v16, v7
	v_fmac_f32_e32 v40, -0.5, v13
	v_mov_b32_e32 v23, v40
	v_fmac_f32_e32 v23, 0xbf737871, v10
	v_fmac_f32_e32 v40, 0x3f737871, v10
	;; [unrolled: 1-line block ×4, first 2 shown]
	v_add_f32_e32 v6, v39, v9
	v_add_f32_e32 v6, v6, v12
	;; [unrolled: 1-line block ×5, first 2 shown]
	v_sub_f32_e32 v11, v11, v16
	v_sub_f32_e32 v7, v14, v7
	v_fma_f32 v50, -0.5, v6, v39
	v_add_f32_e32 v7, v11, v7
	v_sub_f32_e32 v6, v19, v17
	v_mov_b32_e32 v51, v50
	v_fmac_f32_e32 v23, 0x3e9e377a, v7
	v_fmac_f32_e32 v40, 0x3e9e377a, v7
	;; [unrolled: 1-line block ×3, first 2 shown]
	v_sub_f32_e32 v7, v21, v24
	v_sub_f32_e32 v10, v9, v12
	;; [unrolled: 1-line block ×3, first 2 shown]
	v_fmac_f32_e32 v50, 0xbf737871, v6
	v_fmac_f32_e32 v51, 0x3f167918, v7
	v_add_f32_e32 v10, v10, v11
	v_fmac_f32_e32 v50, 0xbf167918, v7
	v_fmac_f32_e32 v51, 0x3e9e377a, v10
	;; [unrolled: 1-line block ×3, first 2 shown]
	v_add_f32_e32 v10, v9, v8
	v_fmac_f32_e32 v39, -0.5, v10
	v_mov_b32_e32 v24, v39
	v_fmac_f32_e32 v24, 0xbf737871, v7
	v_sub_f32_e32 v9, v12, v9
	v_sub_f32_e32 v5, v5, v8
	v_fmac_f32_e32 v39, 0x3f737871, v7
	v_fmac_f32_e32 v24, 0x3f167918, v6
	v_add_f32_e32 v5, v9, v5
	v_fmac_f32_e32 v39, 0xbf167918, v6
	v_fmac_f32_e32 v24, 0x3e9e377a, v5
	v_fmac_f32_e32 v39, 0x3e9e377a, v5
	v_add_u32_e32 v5, 0x600, v0
	s_waitcnt lgkmcnt(0)
	s_barrier
	ds_read_b32 v17, v0
	ds_read_b32 v18, v29
	;; [unrolled: 1-line block ×3, first 2 shown]
	ds_read_b32 v19, v33 offset:1500
	ds_read2_b32 v[7:8], v5 offset0:116 offset1:241
	v_add_u32_e32 v5, 0xa00, v0
	v_add_u32_e32 v9, 0x1200, v0
	ds_read2_b32 v[13:14], v5 offset0:110 offset1:235
	v_add_u32_e32 v5, 0xe00, v0
	ds_read2_b32 v[11:12], v9 offset0:98 offset1:223
	v_add_u32_e32 v9, 0x1600, v0
	v_add_u32_e32 v15, 0x1a00, v0
	ds_read2_b32 v[5:6], v5 offset0:104 offset1:229
	ds_read2_b32 v[9:10], v9 offset0:92 offset1:217
	;; [unrolled: 1-line block ×3, first 2 shown]
	s_waitcnt lgkmcnt(0)
	s_barrier
	ds_write2_b32 v46, v34, v45 offset1:25
	ds_write2_b32 v46, v27, v41 offset0:50 offset1:75
	ds_write_b32 v46, v49 offset:400
	ds_write2_b32 v38, v22, v26 offset1:25
	ds_write2_b32 v38, v23, v40 offset0:50 offset1:75
	ds_write_b32 v38, v25 offset:400
	;; [unrolled: 3-line block ×3, first 2 shown]
	s_and_saveexec_b64 s[6:7], s[0:1]
	s_cbranch_execz .LBB0_35
; %bb.34:
	v_add_f32_e32 v23, v43, v31
	v_fma_f32 v23, -0.5, v23, v35
	v_sub_f32_e32 v24, v32, v48
	v_mov_b32_e32 v25, v23
	v_fmac_f32_e32 v25, 0x3f737871, v24
	v_sub_f32_e32 v26, v47, v44
	v_sub_f32_e32 v27, v20, v43
	;; [unrolled: 1-line block ×3, first 2 shown]
	v_fmac_f32_e32 v23, 0xbf737871, v24
	v_fmac_f32_e32 v25, 0x3f167918, v26
	v_add_f32_e32 v27, v27, v28
	v_fmac_f32_e32 v23, 0xbf167918, v26
	v_fmac_f32_e32 v25, 0x3e9e377a, v27
	;; [unrolled: 1-line block ×3, first 2 shown]
	v_add_f32_e32 v27, v20, v42
	v_add_f32_e32 v22, v35, v20
	v_fmac_f32_e32 v35, -0.5, v27
	v_mov_b32_e32 v27, v35
	v_add_f32_e32 v22, v22, v43
	v_fmac_f32_e32 v27, 0xbf737871, v26
	v_sub_f32_e32 v20, v43, v20
	v_sub_f32_e32 v28, v31, v42
	v_fmac_f32_e32 v35, 0x3f737871, v26
	v_add_f32_e32 v22, v22, v31
	v_fmac_f32_e32 v27, 0x3f167918, v24
	v_add_f32_e32 v20, v20, v28
	;; [unrolled: 2-line block ×3, first 2 shown]
	v_fmac_f32_e32 v27, 0x3e9e377a, v20
	v_fmac_f32_e32 v35, 0x3e9e377a, v20
	v_add_u32_e32 v20, 0x1c00, v36
	ds_write2_b32 v20, v22, v25 offset0:83 offset1:108
	ds_write2_b32 v20, v27, v35 offset0:133 offset1:158
	ds_write_b32 v36, v23 offset:7900
.LBB0_35:
	s_or_b64 exec, exec, s[6:7]
	s_waitcnt lgkmcnt(0)
	s_barrier
	s_and_saveexec_b64 s[0:1], vcc
	s_cbranch_execz .LBB0_37
; %bb.36:
	v_mul_u32_u24_e32 v20, 15, v58
	v_lshlrev_b32_e32 v20, 3, v20
	global_load_dwordx4 v[22:25], v20, s[12:13] offset:960
	global_load_dwordx4 v[34:37], v20, s[12:13] offset:1024
	;; [unrolled: 1-line block ×7, first 2 shown]
	global_load_dwordx2 v[26:27], v20, s[12:13] offset:1072
	v_add_u32_e32 v28, 0x1200, v0
	v_add_u32_e32 v31, 0xa00, v0
	;; [unrolled: 1-line block ×5, first 2 shown]
	v_mul_lo_u32 v20, s5, v3
	v_mul_lo_u32 v56, s4, v4
	v_mad_u64_u32 v[3:4], s[0:1], s4, v3, 0
	ds_read_b32 v66, v0
	v_add_u32_e32 v0, 0x1600, v0
	ds_read_b32 v67, v33 offset:1500
	ds_read_b32 v68, v30
	ds_read_b32 v69, v29
	ds_read2_b32 v[28:29], v28 offset0:98 offset1:223
	ds_read2_b32 v[30:31], v31 offset0:110 offset1:235
	;; [unrolled: 1-line block ×6, first 2 shown]
	v_add3_u32 v4, v4, v56, v20
	v_lshlrev_b64 v[3:4], 3, v[3:4]
	s_waitcnt vmcnt(7)
	v_mul_f32_e32 v0, v21, v25
	s_waitcnt lgkmcnt(7)
	v_mul_f32_e32 v25, v68, v25
	s_waitcnt vmcnt(5)
	v_mul_f32_e32 v56, v13, v40
	v_mul_f32_e32 v13, v13, v41
	s_waitcnt vmcnt(3)
	v_mul_f32_e32 v75, v14, v46
	;; [unrolled: 3-line block ×3, first 2 shown]
	s_waitcnt lgkmcnt(4)
	v_fmac_f32_e32 v75, v31, v47
	v_fma_f32 v14, v31, v46, -v14
	v_mul_f32_e32 v31, v18, v23
	v_mul_f32_e32 v23, v69, v23
	;; [unrolled: 1-line block ×3, first 2 shown]
	v_fmac_f32_e32 v25, v21, v24
	v_fma_f32 v21, v69, v22, -v31
	v_fmac_f32_e32 v23, v18, v22
	s_waitcnt lgkmcnt(1)
	v_fma_f32 v22, v62, v52, -v7
	s_waitcnt vmcnt(1)
	v_mul_f32_e32 v7, v9, v61
	v_mul_f32_e32 v20, v11, v37
	;; [unrolled: 1-line block ×3, first 2 shown]
	v_fmac_f32_e32 v56, v30, v41
	v_fma_f32 v13, v30, v40, -v13
	s_waitcnt vmcnt(0)
	v_mul_f32_e32 v30, v16, v26
	v_mul_f32_e32 v16, v16, v27
	s_waitcnt lgkmcnt(0)
	v_fma_f32 v7, v64, v60, -v7
	v_mul_f32_e32 v70, v15, v44
	v_mul_f32_e32 v71, v5, v49
	;; [unrolled: 1-line block ×4, first 2 shown]
	v_fma_f32 v20, v28, v36, -v20
	v_fma_f32 v28, v29, v58, -v76
	v_mul_f32_e32 v29, v29, v59
	v_fma_f32 v16, v33, v26, -v16
	v_sub_f32_e32 v9, v22, v7
	v_mul_f32_e32 v7, v54, v49
	v_mul_f32_e32 v15, v15, v45
	;; [unrolled: 1-line block ×3, first 2 shown]
	v_fmac_f32_e32 v70, v32, v45
	v_fma_f32 v45, v54, v48, -v71
	v_fmac_f32_e32 v29, v12, v58
	v_sub_f32_e32 v12, v14, v16
	v_mul_f32_e32 v16, v67, v51
	v_fmac_f32_e32 v7, v5, v48
	v_mul_f32_e32 v40, v6, v35
	v_mul_f32_e32 v46, v10, v42
	v_fmac_f32_e32 v37, v11, v36
	v_fmac_f32_e32 v30, v33, v27
	;; [unrolled: 1-line block ×3, first 2 shown]
	v_sub_f32_e32 v27, v66, v45
	v_fmac_f32_e32 v16, v19, v50
	v_mul_f32_e32 v8, v8, v39
	v_mul_f32_e32 v10, v10, v43
	v_sub_f32_e32 v39, v17, v7
	v_mul_f32_e32 v74, v19, v51
	v_fma_f32 v0, v68, v24, -v0
	v_fma_f32 v15, v32, v44, -v15
	;; [unrolled: 1-line block ×3, first 2 shown]
	v_sub_f32_e32 v26, v56, v70
	v_sub_f32_e32 v32, v25, v37
	;; [unrolled: 1-line block ×3, first 2 shown]
	v_fma_f32 v29, v63, v38, -v8
	v_fma_f32 v10, v65, v42, -v10
	v_add_f32_e32 v42, v39, v9
	v_fma_f32 v48, v66, 2.0, -v27
	v_fma_f32 v9, v22, 2.0, -v9
	v_sub_f32_e32 v24, v21, v24
	v_sub_f32_e32 v10, v29, v10
	;; [unrolled: 1-line block ×3, first 2 shown]
	v_fma_f32 v22, v25, 2.0, -v32
	v_fma_f32 v9, v56, 2.0, -v26
	v_fmac_f32_e32 v72, v62, v53
	v_fmac_f32_e32 v73, v64, v61
	v_fma_f32 v11, v67, v50, -v74
	v_sub_f32_e32 v30, v75, v30
	v_mul_f32_e32 v18, v55, v35
	v_sub_f32_e32 v25, v22, v9
	v_fma_f32 v21, v21, 2.0, -v24
	v_fma_f32 v9, v29, 2.0, -v10
	v_sub_f32_e32 v31, v72, v73
	v_sub_f32_e32 v28, v11, v28
	v_fmac_f32_e32 v46, v65, v43
	v_fmac_f32_e32 v18, v6, v34
	v_sub_f32_e32 v29, v21, v9
	v_fma_f32 v50, v16, 2.0, -v19
	v_fma_f32 v9, v75, 2.0, -v30
	v_sub_f32_e32 v20, v0, v20
	v_sub_f32_e32 v36, v27, v31
	;; [unrolled: 1-line block ×6, first 2 shown]
	v_fma_f32 v52, v11, 2.0, -v28
	v_fma_f32 v9, v14, 2.0, -v12
	v_sub_f32_e32 v15, v13, v15
	v_sub_f32_e32 v33, v20, v26
	v_mov_b32_e32 v44, v36
	v_sub_f32_e32 v46, v24, v45
	v_sub_f32_e32 v53, v52, v9
	v_fma_f32 v23, v23, 2.0, -v18
	v_fma_f32 v9, v41, 2.0, -v45
	v_add_f32_e32 v37, v32, v15
	v_fmac_f32_e32 v44, 0x3f3504f3, v33
	v_mov_b32_e32 v47, v46
	v_add_f32_e32 v34, v18, v10
	v_sub_f32_e32 v41, v23, v9
	v_fma_f32 v0, v0, 2.0, -v20
	v_fma_f32 v9, v13, 2.0, -v15
	v_fmac_f32_e32 v44, 0xbf3504f3, v37
	v_fmac_f32_e32 v47, 0x3f3504f3, v40
	v_add_f32_e32 v38, v19, v12
	v_mov_b32_e32 v35, v34
	v_sub_f32_e32 v54, v0, v9
	v_fma_f32 v17, v17, 2.0, -v39
	v_fma_f32 v9, v72, 2.0, -v31
	v_fmac_f32_e32 v47, 0xbf3504f3, v38
	v_fmac_f32_e32 v35, 0x3f3504f3, v38
	v_mov_b32_e32 v43, v42
	v_sub_f32_e32 v31, v17, v9
	v_fma_f32 v61, v21, 2.0, -v29
	v_fma_f32 v21, v36, 2.0, -v44
	v_fmac_f32_e32 v35, 0x3f3504f3, v40
	v_fmac_f32_e32 v43, 0x3f3504f3, v37
	v_add_f32_e32 v55, v54, v31
	v_fma_f32 v0, v0, 2.0, -v54
	v_fma_f32 v54, v23, 2.0, -v41
	;; [unrolled: 1-line block ×5, first 2 shown]
	v_mov_b32_e32 v22, v21
	v_fmac_f32_e32 v43, 0x3f3504f3, v33
	v_sub_f32_e32 v26, v49, v25
	v_fmac_f32_e32 v22, 0xbec3ef15, v23
	v_fma_f32 v25, v34, 2.0, -v35
	v_fma_f32 v56, v27, 2.0, -v36
	v_fmac_f32_e32 v22, 0xbf6c835e, v25
	v_fma_f32 v27, v42, 2.0, -v43
	v_sub_f32_e32 v51, v29, v30
	v_mov_b32_e32 v10, v26
	v_fma_f32 v15, v32, 2.0, -v37
	v_fma_f32 v32, v24, 2.0, -v46
	;; [unrolled: 1-line block ×3, first 2 shown]
	v_mov_b32_e32 v21, v27
	v_fmac_f32_e32 v10, 0x3f3504f3, v51
	v_add_f32_e32 v45, v53, v41
	v_fmac_f32_e32 v21, 0xbec3ef15, v25
	v_fmac_f32_e32 v10, 0xbf3504f3, v45
	v_fmac_f32_e32 v21, 0x3f6c835e, v23
	v_fma_f32 v25, v49, 2.0, -v26
	v_fma_f32 v12, v26, 2.0, -v10
	;; [unrolled: 1-line block ×4, first 2 shown]
	v_mov_b32_e32 v26, v25
	v_fma_f32 v13, v20, 2.0, -v33
	v_mov_b32_e32 v33, v56
	v_fmac_f32_e32 v26, 0xbf3504f3, v27
	v_fma_f32 v29, v41, 2.0, -v45
	v_fmac_f32_e32 v33, 0xbf3504f3, v13
	v_fma_f32 v16, v28, 2.0, -v40
	v_mov_b32_e32 v37, v32
	v_fma_f32 v19, v19, 2.0, -v38
	v_fma_f32 v38, v18, 2.0, -v34
	;; [unrolled: 1-line block ×3, first 2 shown]
	v_fmac_f32_e32 v26, 0xbf3504f3, v29
	v_fma_f32 v30, v31, 2.0, -v55
	v_fmac_f32_e32 v33, 0xbf3504f3, v15
	v_fmac_f32_e32 v37, 0xbf3504f3, v16
	v_mov_b32_e32 v40, v38
	v_fma_f32 v28, v25, 2.0, -v26
	v_mov_b32_e32 v25, v30
	v_fmac_f32_e32 v37, 0xbf3504f3, v19
	v_mov_b32_e32 v14, v33
	v_fmac_f32_e32 v40, 0xbf3504f3, v19
	v_fma_f32 v39, v39, 2.0, -v42
	v_fmac_f32_e32 v25, 0xbf3504f3, v29
	v_fmac_f32_e32 v14, 0x3ec3ef15, v37
	;; [unrolled: 1-line block ×3, first 2 shown]
	v_mov_b32_e32 v58, v39
	v_fmac_f32_e32 v25, 0x3f3504f3, v27
	v_fma_f32 v29, v56, 2.0, -v33
	v_fmac_f32_e32 v14, 0xbf6c835e, v40
	v_fmac_f32_e32 v58, 0xbf3504f3, v15
	v_fma_f32 v27, v30, 2.0, -v25
	v_fma_f32 v31, v32, 2.0, -v37
	v_mov_b32_e32 v30, v29
	v_fma_f32 v16, v33, 2.0, -v14
	v_fmac_f32_e32 v58, 0x3f3504f3, v13
	v_fmac_f32_e32 v30, 0xbf6c835e, v31
	v_fma_f32 v33, v38, 2.0, -v40
	v_fmac_f32_e32 v30, 0xbec3ef15, v33
	v_fma_f32 v34, v39, 2.0, -v58
	v_fma_f32 v32, v29, 2.0, -v30
	v_mov_b32_e32 v29, v34
	v_fmac_f32_e32 v29, 0xbf6c835e, v33
	v_fma_f32 v48, v48, 2.0, -v49
	v_fmac_f32_e32 v29, 0x3ec3ef15, v31
	v_mov_b32_e32 v8, v44
	v_sub_f32_e32 v0, v48, v0
	v_sub_f32_e32 v50, v54, v18
	;; [unrolled: 1-line block ×3, first 2 shown]
	v_fma_f32 v17, v52, 2.0, -v53
	v_fma_f32 v31, v34, 2.0, -v29
	v_mad_u64_u32 v[33:34], s[0:1], s2, v57, 0
	v_fmac_f32_e32 v8, 0x3f6c835e, v47
	v_mov_b32_e32 v7, v43
	v_sub_f32_e32 v18, v0, v50
	v_sub_f32_e32 v52, v61, v17
	v_fmac_f32_e32 v8, 0xbec3ef15, v35
	v_fmac_f32_e32 v7, 0x3f6c835e, v35
	v_fma_f32 v20, v0, 2.0, -v18
	v_fma_f32 v0, v48, 2.0, -v0
	v_fma_f32 v35, v61, 2.0, -v52
	v_mov_b32_e32 v13, v58
	v_sub_f32_e32 v36, v0, v35
	v_fmac_f32_e32 v13, 0x3ec3ef15, v40
	v_fma_f32 v38, v0, 2.0, -v36
	v_mov_b32_e32 v0, v34
	v_fmac_f32_e32 v13, 0x3f6c835e, v37
	v_fma_f32 v37, v59, 2.0, -v60
	v_mad_u64_u32 v[34:35], s[0:1], s3, v57, v[0:1]
	v_fma_f32 v0, v54, 2.0, -v50
	v_sub_f32_e32 v35, v37, v0
	v_mov_b32_e32 v0, s11
	v_add_co_u32_e32 v39, vcc, s10, v3
	v_add_u32_e32 v40, 0x7d, v57
	v_addc_co_u32_e32 v4, vcc, v0, v4, vcc
	v_lshlrev_b64 v[0:1], 3, v[1:2]
	v_mad_u64_u32 v[2:3], s[0:1], s2, v40, 0
	v_add_co_u32_e32 v39, vcc, v39, v0
	v_addc_co_u32_e32 v41, vcc, v4, v1, vcc
	v_lshlrev_b64 v[0:1], 3, v[33:34]
	v_mad_u64_u32 v[3:4], s[0:1], s3, v40, v[3:4]
	v_add_co_u32_e32 v0, vcc, v39, v0
	v_fma_f32 v37, v37, 2.0, -v35
	v_addc_co_u32_e32 v1, vcc, v41, v1, vcc
	v_add_u32_e32 v4, 0xfa, v57
	global_store_dwordx2 v[0:1], v[37:38], off
	v_lshlrev_b64 v[0:1], 3, v[2:3]
	v_mad_u64_u32 v[2:3], s[0:1], s2, v4, 0
	v_add_co_u32_e32 v0, vcc, v39, v0
	v_mad_u64_u32 v[3:4], s[0:1], s3, v4, v[3:4]
	v_add_u32_e32 v4, 0x177, v57
	v_mad_u64_u32 v[33:34], s[0:1], s2, v4, 0
	v_addc_co_u32_e32 v1, vcc, v41, v1, vcc
	global_store_dwordx2 v[0:1], v[31:32], off
	v_lshlrev_b64 v[0:1], 3, v[2:3]
	v_mov_b32_e32 v2, v34
	v_mad_u64_u32 v[2:3], s[0:1], s3, v4, v[2:3]
	v_add_u32_e32 v4, 0x1f4, v57
	v_add_co_u32_e32 v0, vcc, v39, v0
	v_mov_b32_e32 v34, v2
	v_mad_u64_u32 v[2:3], s[0:1], s2, v4, 0
	v_addc_co_u32_e32 v1, vcc, v41, v1, vcc
	v_mad_u64_u32 v[3:4], s[0:1], s3, v4, v[3:4]
	v_add_u32_e32 v4, 0x271, v57
	global_store_dwordx2 v[0:1], v[27:28], off
	v_lshlrev_b64 v[0:1], 3, v[33:34]
	v_mad_u64_u32 v[27:28], s[0:1], s2, v4, 0
	v_add_co_u32_e32 v0, vcc, v39, v0
	v_addc_co_u32_e32 v1, vcc, v41, v1, vcc
	global_store_dwordx2 v[0:1], v[23:24], off
	v_lshlrev_b64 v[0:1], 3, v[2:3]
	v_mov_b32_e32 v2, v28
	v_mad_u64_u32 v[2:3], s[0:1], s3, v4, v[2:3]
	v_add_u32_e32 v4, 0x2ee, v57
	v_add_f32_e32 v17, v60, v52
	v_mov_b32_e32 v28, v2
	v_mad_u64_u32 v[2:3], s[0:1], s2, v4, 0
	v_add_co_u32_e32 v0, vcc, v39, v0
	v_mad_u64_u32 v[3:4], s[0:1], s3, v4, v[3:4]
	v_fma_f32 v19, v60, 2.0, -v17
	v_addc_co_u32_e32 v1, vcc, v41, v1, vcc
	v_add_u32_e32 v4, 0x36b, v57
	global_store_dwordx2 v[0:1], v[19:20], off
	v_lshlrev_b64 v[0:1], 3, v[27:28]
	v_mad_u64_u32 v[19:20], s[0:1], s2, v4, 0
	v_add_co_u32_e32 v0, vcc, v39, v0
	v_fma_f32 v15, v58, 2.0, -v13
	v_addc_co_u32_e32 v1, vcc, v41, v1, vcc
	global_store_dwordx2 v[0:1], v[15:16], off
	v_lshlrev_b64 v[0:1], 3, v[2:3]
	v_mov_b32_e32 v2, v20
	v_mad_u64_u32 v[2:3], s[0:1], s3, v4, v[2:3]
	v_add_u32_e32 v4, 0x3e8, v57
	v_mov_b32_e32 v9, v55
	v_mov_b32_e32 v20, v2
	v_mad_u64_u32 v[2:3], s[0:1], s2, v4, 0
	v_fmac_f32_e32 v9, 0x3f3504f3, v45
	v_fmac_f32_e32 v9, 0x3f3504f3, v51
	v_add_co_u32_e32 v0, vcc, v39, v0
	v_mad_u64_u32 v[3:4], s[0:1], s3, v4, v[3:4]
	v_fma_f32 v11, v55, 2.0, -v9
	v_addc_co_u32_e32 v1, vcc, v41, v1, vcc
	v_add_u32_e32 v4, 0x465, v57
	global_store_dwordx2 v[0:1], v[11:12], off
	v_lshlrev_b64 v[0:1], 3, v[19:20]
	v_mad_u64_u32 v[11:12], s[0:1], s2, v4, 0
	v_fmac_f32_e32 v7, 0x3ec3ef15, v47
	v_add_co_u32_e32 v0, vcc, v39, v0
	v_fma_f32 v6, v44, 2.0, -v8
	v_fma_f32 v5, v43, 2.0, -v7
	v_addc_co_u32_e32 v1, vcc, v41, v1, vcc
	global_store_dwordx2 v[0:1], v[5:6], off
	v_lshlrev_b64 v[0:1], 3, v[2:3]
	v_mov_b32_e32 v2, v12
	v_mad_u64_u32 v[2:3], s[0:1], s3, v4, v[2:3]
	v_add_u32_e32 v4, 0x4e2, v57
	v_add_co_u32_e32 v0, vcc, v39, v0
	v_mov_b32_e32 v12, v2
	v_mad_u64_u32 v[2:3], s[0:1], s2, v4, 0
	v_addc_co_u32_e32 v1, vcc, v41, v1, vcc
	v_mad_u64_u32 v[3:4], s[0:1], s3, v4, v[3:4]
	v_add_u32_e32 v6, 0x55f, v57
	global_store_dwordx2 v[0:1], v[35:36], off
	v_lshlrev_b64 v[0:1], 3, v[11:12]
	v_mad_u64_u32 v[4:5], s[0:1], s2, v6, 0
	v_add_co_u32_e32 v0, vcc, v39, v0
	v_addc_co_u32_e32 v1, vcc, v41, v1, vcc
	global_store_dwordx2 v[0:1], v[29:30], off
	v_lshlrev_b64 v[0:1], 3, v[2:3]
	v_mov_b32_e32 v2, v5
	v_mad_u64_u32 v[2:3], s[0:1], s3, v6, v[2:3]
	v_add_co_u32_e32 v0, vcc, v39, v0
	v_addc_co_u32_e32 v1, vcc, v41, v1, vcc
	v_mov_b32_e32 v5, v2
	global_store_dwordx2 v[0:1], v[25:26], off
	v_lshlrev_b64 v[0:1], 3, v[4:5]
	v_add_u32_e32 v4, 0x5dc, v57
	v_mad_u64_u32 v[2:3], s[0:1], s2, v4, 0
	v_add_u32_e32 v6, 0x659, v57
	v_add_co_u32_e32 v0, vcc, v39, v0
	v_mad_u64_u32 v[3:4], s[0:1], s3, v4, v[3:4]
	v_mad_u64_u32 v[4:5], s[0:1], s2, v6, 0
	v_addc_co_u32_e32 v1, vcc, v41, v1, vcc
	global_store_dwordx2 v[0:1], v[21:22], off
	v_lshlrev_b64 v[0:1], 3, v[2:3]
	v_mov_b32_e32 v2, v5
	v_mad_u64_u32 v[2:3], s[0:1], s3, v6, v[2:3]
	v_add_co_u32_e32 v0, vcc, v39, v0
	v_addc_co_u32_e32 v1, vcc, v41, v1, vcc
	v_mov_b32_e32 v5, v2
	global_store_dwordx2 v[0:1], v[17:18], off
	v_lshlrev_b64 v[0:1], 3, v[4:5]
	v_add_u32_e32 v4, 0x6d6, v57
	v_mad_u64_u32 v[2:3], s[0:1], s2, v4, 0
	v_add_u32_e32 v6, 0x753, v57
	v_add_co_u32_e32 v0, vcc, v39, v0
	v_mad_u64_u32 v[3:4], s[0:1], s3, v4, v[3:4]
	v_mad_u64_u32 v[4:5], s[0:1], s2, v6, 0
	v_addc_co_u32_e32 v1, vcc, v41, v1, vcc
	global_store_dwordx2 v[0:1], v[13:14], off
	v_lshlrev_b64 v[0:1], 3, v[2:3]
	v_mov_b32_e32 v2, v5
	v_mad_u64_u32 v[2:3], s[0:1], s3, v6, v[2:3]
	v_add_co_u32_e32 v0, vcc, v39, v0
	v_addc_co_u32_e32 v1, vcc, v41, v1, vcc
	v_mov_b32_e32 v5, v2
	global_store_dwordx2 v[0:1], v[9:10], off
	v_lshlrev_b64 v[0:1], 3, v[4:5]
	v_add_co_u32_e32 v0, vcc, v39, v0
	v_addc_co_u32_e32 v1, vcc, v41, v1, vcc
	global_store_dwordx2 v[0:1], v[7:8], off
.LBB0_37:
	s_endpgm
	.section	.rodata,"a",@progbits
	.p2align	6, 0x0
	.amdhsa_kernel fft_rtc_back_len2000_factors_5_5_5_16_wgs_125_tpt_125_halfLds_sp_op_CI_CI_sbrr_dirReg
		.amdhsa_group_segment_fixed_size 0
		.amdhsa_private_segment_fixed_size 0
		.amdhsa_kernarg_size 104
		.amdhsa_user_sgpr_count 6
		.amdhsa_user_sgpr_private_segment_buffer 1
		.amdhsa_user_sgpr_dispatch_ptr 0
		.amdhsa_user_sgpr_queue_ptr 0
		.amdhsa_user_sgpr_kernarg_segment_ptr 1
		.amdhsa_user_sgpr_dispatch_id 0
		.amdhsa_user_sgpr_flat_scratch_init 0
		.amdhsa_user_sgpr_private_segment_size 0
		.amdhsa_uses_dynamic_stack 0
		.amdhsa_system_sgpr_private_segment_wavefront_offset 0
		.amdhsa_system_sgpr_workgroup_id_x 1
		.amdhsa_system_sgpr_workgroup_id_y 0
		.amdhsa_system_sgpr_workgroup_id_z 0
		.amdhsa_system_sgpr_workgroup_info 0
		.amdhsa_system_vgpr_workitem_id 0
		.amdhsa_next_free_vgpr 80
		.amdhsa_next_free_sgpr 32
		.amdhsa_reserve_vcc 1
		.amdhsa_reserve_flat_scratch 0
		.amdhsa_float_round_mode_32 0
		.amdhsa_float_round_mode_16_64 0
		.amdhsa_float_denorm_mode_32 3
		.amdhsa_float_denorm_mode_16_64 3
		.amdhsa_dx10_clamp 1
		.amdhsa_ieee_mode 1
		.amdhsa_fp16_overflow 0
		.amdhsa_exception_fp_ieee_invalid_op 0
		.amdhsa_exception_fp_denorm_src 0
		.amdhsa_exception_fp_ieee_div_zero 0
		.amdhsa_exception_fp_ieee_overflow 0
		.amdhsa_exception_fp_ieee_underflow 0
		.amdhsa_exception_fp_ieee_inexact 0
		.amdhsa_exception_int_div_zero 0
	.end_amdhsa_kernel
	.text
.Lfunc_end0:
	.size	fft_rtc_back_len2000_factors_5_5_5_16_wgs_125_tpt_125_halfLds_sp_op_CI_CI_sbrr_dirReg, .Lfunc_end0-fft_rtc_back_len2000_factors_5_5_5_16_wgs_125_tpt_125_halfLds_sp_op_CI_CI_sbrr_dirReg
                                        ; -- End function
	.section	.AMDGPU.csdata,"",@progbits
; Kernel info:
; codeLenInByte = 12264
; NumSgprs: 36
; NumVgprs: 80
; ScratchSize: 0
; MemoryBound: 0
; FloatMode: 240
; IeeeMode: 1
; LDSByteSize: 0 bytes/workgroup (compile time only)
; SGPRBlocks: 4
; VGPRBlocks: 19
; NumSGPRsForWavesPerEU: 36
; NumVGPRsForWavesPerEU: 80
; Occupancy: 3
; WaveLimiterHint : 1
; COMPUTE_PGM_RSRC2:SCRATCH_EN: 0
; COMPUTE_PGM_RSRC2:USER_SGPR: 6
; COMPUTE_PGM_RSRC2:TRAP_HANDLER: 0
; COMPUTE_PGM_RSRC2:TGID_X_EN: 1
; COMPUTE_PGM_RSRC2:TGID_Y_EN: 0
; COMPUTE_PGM_RSRC2:TGID_Z_EN: 0
; COMPUTE_PGM_RSRC2:TIDIG_COMP_CNT: 0
	.type	__hip_cuid_782423b6bcd44b4,@object ; @__hip_cuid_782423b6bcd44b4
	.section	.bss,"aw",@nobits
	.globl	__hip_cuid_782423b6bcd44b4
__hip_cuid_782423b6bcd44b4:
	.byte	0                               ; 0x0
	.size	__hip_cuid_782423b6bcd44b4, 1

	.ident	"AMD clang version 19.0.0git (https://github.com/RadeonOpenCompute/llvm-project roc-6.4.0 25133 c7fe45cf4b819c5991fe208aaa96edf142730f1d)"
	.section	".note.GNU-stack","",@progbits
	.addrsig
	.addrsig_sym __hip_cuid_782423b6bcd44b4
	.amdgpu_metadata
---
amdhsa.kernels:
  - .args:
      - .actual_access:  read_only
        .address_space:  global
        .offset:         0
        .size:           8
        .value_kind:     global_buffer
      - .offset:         8
        .size:           8
        .value_kind:     by_value
      - .actual_access:  read_only
        .address_space:  global
        .offset:         16
        .size:           8
        .value_kind:     global_buffer
      - .actual_access:  read_only
        .address_space:  global
        .offset:         24
        .size:           8
        .value_kind:     global_buffer
      - .actual_access:  read_only
        .address_space:  global
        .offset:         32
        .size:           8
        .value_kind:     global_buffer
      - .offset:         40
        .size:           8
        .value_kind:     by_value
      - .actual_access:  read_only
        .address_space:  global
        .offset:         48
        .size:           8
        .value_kind:     global_buffer
      - .actual_access:  read_only
        .address_space:  global
        .offset:         56
        .size:           8
        .value_kind:     global_buffer
      - .offset:         64
        .size:           4
        .value_kind:     by_value
      - .actual_access:  read_only
        .address_space:  global
        .offset:         72
        .size:           8
        .value_kind:     global_buffer
      - .actual_access:  read_only
        .address_space:  global
        .offset:         80
        .size:           8
        .value_kind:     global_buffer
      - .actual_access:  read_only
        .address_space:  global
        .offset:         88
        .size:           8
        .value_kind:     global_buffer
      - .actual_access:  write_only
        .address_space:  global
        .offset:         96
        .size:           8
        .value_kind:     global_buffer
    .group_segment_fixed_size: 0
    .kernarg_segment_align: 8
    .kernarg_segment_size: 104
    .language:       OpenCL C
    .language_version:
      - 2
      - 0
    .max_flat_workgroup_size: 125
    .name:           fft_rtc_back_len2000_factors_5_5_5_16_wgs_125_tpt_125_halfLds_sp_op_CI_CI_sbrr_dirReg
    .private_segment_fixed_size: 0
    .sgpr_count:     36
    .sgpr_spill_count: 0
    .symbol:         fft_rtc_back_len2000_factors_5_5_5_16_wgs_125_tpt_125_halfLds_sp_op_CI_CI_sbrr_dirReg.kd
    .uniform_work_group_size: 1
    .uses_dynamic_stack: false
    .vgpr_count:     80
    .vgpr_spill_count: 0
    .wavefront_size: 64
amdhsa.target:   amdgcn-amd-amdhsa--gfx906
amdhsa.version:
  - 1
  - 2
...

	.end_amdgpu_metadata
